;; amdgpu-corpus repo=ROCm/rocFFT kind=compiled arch=gfx1201 opt=O3
	.text
	.amdgcn_target "amdgcn-amd-amdhsa--gfx1201"
	.amdhsa_code_object_version 6
	.protected	bluestein_single_back_len765_dim1_sp_op_CI_CI ; -- Begin function bluestein_single_back_len765_dim1_sp_op_CI_CI
	.globl	bluestein_single_back_len765_dim1_sp_op_CI_CI
	.p2align	8
	.type	bluestein_single_back_len765_dim1_sp_op_CI_CI,@function
bluestein_single_back_len765_dim1_sp_op_CI_CI: ; @bluestein_single_back_len765_dim1_sp_op_CI_CI
; %bb.0:
	s_load_b128 s[8:11], s[0:1], 0x28
	v_mul_u32_u24_e32 v1, 0x506, v0
	s_mov_b32 s2, exec_lo
	s_delay_alu instid0(VALU_DEP_1) | instskip(NEXT) | instid1(VALU_DEP_1)
	v_lshrrev_b32_e32 v1, 16, v1
	v_mad_co_u64_u32 v[88:89], null, ttmp9, 5, v[1:2]
	v_mov_b32_e32 v89, 0
                                        ; kill: def $vgpr2 killed $sgpr0 killed $exec
	s_wait_kmcnt 0x0
	s_delay_alu instid0(VALU_DEP_1)
	v_cmpx_gt_u64_e64 s[8:9], v[88:89]
	s_cbranch_execz .LBB0_15
; %bb.1:
	v_mul_hi_u32 v2, 0xcccccccd, v88
	s_clause 0x1
	s_load_b64 s[8:9], s[0:1], 0x0
	s_load_b64 s[12:13], s[0:1], 0x38
	v_mul_lo_u16 v1, v1, 51
	s_delay_alu instid0(VALU_DEP_1) | instskip(NEXT) | instid1(VALU_DEP_3)
	v_sub_nc_u16 v0, v0, v1
	v_lshrrev_b32_e32 v2, 2, v2
	s_delay_alu instid0(VALU_DEP_2) | instskip(NEXT) | instid1(VALU_DEP_2)
	v_and_b32_e32 v95, 0xffff, v0
	v_lshl_add_u32 v2, v2, 2, v2
	v_cmp_gt_u16_e32 vcc_lo, 45, v0
	s_delay_alu instid0(VALU_DEP_3) | instskip(NEXT) | instid1(VALU_DEP_3)
	v_lshlrev_b32_e32 v93, 3, v95
	v_sub_nc_u32_e32 v1, v88, v2
	s_delay_alu instid0(VALU_DEP_1) | instskip(NEXT) | instid1(VALU_DEP_1)
	v_mul_u32_u24_e32 v94, 0x2fd, v1
	v_lshlrev_b32_e32 v96, 3, v94
	s_and_saveexec_b32 s3, vcc_lo
	s_cbranch_execz .LBB0_3
; %bb.2:
	s_load_b64 s[4:5], s[0:1], 0x18
	s_delay_alu instid0(VALU_DEP_1) | instskip(SKIP_1) | instid1(VALU_DEP_1)
	v_lshl_add_u32 v71, v95, 3, v96
	v_add_nc_u32_e32 v70, v96, v93
	v_add_nc_u32_e32 v72, 0x400, v70
	;; [unrolled: 1-line block ×3, first 2 shown]
	s_wait_kmcnt 0x0
	s_load_b128 s[4:7], s[4:5], 0x0
	s_wait_kmcnt 0x0
	v_mad_co_u64_u32 v[0:1], null, s6, v88, 0
	v_mad_co_u64_u32 v[2:3], null, s4, v95, 0
	s_delay_alu instid0(VALU_DEP_1) | instskip(NEXT) | instid1(VALU_DEP_1)
	v_mad_co_u64_u32 v[4:5], null, s7, v88, v[1:2]
	v_mad_co_u64_u32 v[5:6], null, s5, v95, v[3:4]
	v_mov_b32_e32 v1, v4
	s_mul_u64 s[4:5], s[4:5], 0x168
	s_delay_alu instid0(VALU_DEP_1) | instskip(NEXT) | instid1(VALU_DEP_3)
	v_lshlrev_b64_e32 v[0:1], 3, v[0:1]
	v_mov_b32_e32 v3, v5
	s_clause 0x3
	global_load_b64 v[4:5], v93, s[8:9]
	global_load_b64 v[6:7], v93, s[8:9] offset:360
	global_load_b64 v[8:9], v93, s[8:9] offset:720
	;; [unrolled: 1-line block ×3, first 2 shown]
	v_lshlrev_b64_e32 v[2:3], 3, v[2:3]
	v_add_co_u32 v18, s2, s10, v0
	s_delay_alu instid0(VALU_DEP_1)
	v_add_co_ci_u32_e64 v19, s2, s11, v1, s2
	s_clause 0x3
	global_load_b64 v[0:1], v93, s[8:9] offset:1440
	global_load_b64 v[12:13], v93, s[8:9] offset:1800
	;; [unrolled: 1-line block ×4, first 2 shown]
	v_add_co_u32 v2, s2, v18, v2
	s_wait_alu 0xf1ff
	v_add_co_ci_u32_e64 v3, s2, v19, v3, s2
	s_clause 0x3
	global_load_b64 v[20:21], v93, s[8:9] offset:2880
	global_load_b64 v[22:23], v93, s[8:9] offset:3240
	;; [unrolled: 1-line block ×4, first 2 shown]
	s_wait_alu 0xfffe
	v_add_co_u32 v18, s2, v2, s4
	s_wait_alu 0xf1ff
	v_add_co_ci_u32_e64 v19, s2, s5, v3, s2
	s_clause 0x2
	global_load_b64 v[30:31], v93, s[8:9] offset:4320
	global_load_b64 v[32:33], v93, s[8:9] offset:4680
	;; [unrolled: 1-line block ×3, first 2 shown]
	v_add_co_u32 v28, s2, v18, s4
	s_wait_alu 0xf1ff
	v_add_co_ci_u32_e64 v29, s2, s5, v19, s2
	global_load_b64 v[2:3], v[2:3], off
	v_add_co_u32 v36, s2, v28, s4
	s_wait_alu 0xf1ff
	v_add_co_ci_u32_e64 v37, s2, s5, v29, s2
	s_delay_alu instid0(VALU_DEP_2) | instskip(SKIP_1) | instid1(VALU_DEP_2)
	v_add_co_u32 v38, s2, v36, s4
	s_wait_alu 0xf1ff
	v_add_co_ci_u32_e64 v39, s2, s5, v37, s2
	s_clause 0x2
	global_load_b64 v[18:19], v[18:19], off
	global_load_b64 v[28:29], v[28:29], off
	;; [unrolled: 1-line block ×3, first 2 shown]
	v_add_co_u32 v40, s2, v38, s4
	s_wait_alu 0xf1ff
	v_add_co_ci_u32_e64 v41, s2, s5, v39, s2
	global_load_b64 v[38:39], v[38:39], off
	v_add_co_u32 v42, s2, v40, s4
	s_wait_alu 0xf1ff
	v_add_co_ci_u32_e64 v43, s2, s5, v41, s2
	global_load_b64 v[40:41], v[40:41], off
	v_add_co_u32 v44, s2, v42, s4
	s_wait_alu 0xf1ff
	v_add_co_ci_u32_e64 v45, s2, s5, v43, s2
	global_load_b64 v[42:43], v[42:43], off
	v_add_co_u32 v46, s2, v44, s4
	s_wait_alu 0xf1ff
	v_add_co_ci_u32_e64 v47, s2, s5, v45, s2
	global_load_b64 v[44:45], v[44:45], off
	v_add_co_u32 v48, s2, v46, s4
	s_wait_alu 0xf1ff
	v_add_co_ci_u32_e64 v49, s2, s5, v47, s2
	global_load_b64 v[46:47], v[46:47], off
	v_add_co_u32 v50, s2, v48, s4
	s_wait_alu 0xf1ff
	v_add_co_ci_u32_e64 v51, s2, s5, v49, s2
	global_load_b64 v[48:49], v[48:49], off
	v_add_co_u32 v52, s2, v50, s4
	s_wait_alu 0xf1ff
	v_add_co_ci_u32_e64 v53, s2, s5, v51, s2
	global_load_b64 v[50:51], v[50:51], off
	v_add_co_u32 v54, s2, v52, s4
	s_wait_alu 0xf1ff
	v_add_co_ci_u32_e64 v55, s2, s5, v53, s2
	global_load_b64 v[52:53], v[52:53], off
	v_add_co_u32 v56, s2, v54, s4
	s_wait_alu 0xf1ff
	v_add_co_ci_u32_e64 v57, s2, s5, v55, s2
	global_load_b64 v[54:55], v[54:55], off
	v_add_co_u32 v58, s2, v56, s4
	s_wait_alu 0xf1ff
	v_add_co_ci_u32_e64 v59, s2, s5, v57, s2
	global_load_b64 v[56:57], v[56:57], off
	v_add_co_u32 v60, s2, v58, s4
	s_wait_alu 0xf1ff
	v_add_co_ci_u32_e64 v61, s2, s5, v59, s2
	global_load_b64 v[58:59], v[58:59], off
	v_add_co_u32 v62, s2, v60, s4
	s_wait_alu 0xf1ff
	v_add_co_ci_u32_e64 v63, s2, s5, v61, s2
	global_load_b64 v[64:65], v93, s[8:9] offset:5400
	global_load_b64 v[60:61], v[60:61], off
	global_load_b64 v[66:67], v93, s[8:9] offset:5760
	global_load_b64 v[62:63], v[62:63], off
	v_add_nc_u32_e32 v74, 0xc00, v70
	s_wait_loadcnt 0x12
	v_mul_f32_e32 v68, v3, v5
	v_mul_f32_e32 v5, v2, v5
	s_delay_alu instid0(VALU_DEP_2) | instskip(NEXT) | instid1(VALU_DEP_2)
	v_dual_fmac_f32 v68, v2, v4 :: v_dual_add_nc_u32 v73, 0x800, v70
	v_fma_f32 v69, v3, v4, -v5
	s_wait_loadcnt 0x11
	v_mul_f32_e32 v2, v19, v7
	s_wait_loadcnt 0x10
	v_dual_mul_f32 v3, v18, v7 :: v_dual_mul_f32 v4, v29, v9
	s_wait_loadcnt 0xf
	v_mul_f32_e32 v7, v36, v11
	v_dual_mul_f32 v5, v28, v9 :: v_dual_fmac_f32 v2, v18, v6
	s_delay_alu instid0(VALU_DEP_3) | instskip(SKIP_4) | instid1(VALU_DEP_3)
	v_fma_f32 v3, v19, v6, -v3
	s_wait_loadcnt 0xe
	v_dual_mul_f32 v6, v37, v11 :: v_dual_mul_f32 v9, v39, v1
	v_dual_fmac_f32 v4, v28, v8 :: v_dual_mul_f32 v1, v38, v1
	v_fma_f32 v5, v29, v8, -v5
	v_dual_fmac_f32 v6, v36, v10 :: v_dual_fmac_f32 v9, v38, v0
	v_fma_f32 v7, v37, v10, -v7
	s_delay_alu instid0(VALU_DEP_4)
	v_fma_f32 v10, v39, v0, -v1
	ds_store_b64 v71, v[68:69]
	s_wait_loadcnt 0xd
	v_mul_f32_e32 v8, v40, v13
	ds_store_2addr_b64 v70, v[2:3], v[4:5] offset0:45 offset1:90
	ds_store_2addr_b64 v70, v[6:7], v[9:10] offset0:135 offset1:180
	s_wait_loadcnt 0xb
	v_mul_f32_e32 v0, v45, v17
	s_wait_loadcnt 0xa
	v_mul_f32_e32 v2, v47, v21
	s_delay_alu instid0(VALU_DEP_1)
	v_dual_mul_f32 v1, v44, v17 :: v_dual_fmac_f32 v2, v46, v20
	s_wait_loadcnt 0x9
	v_mul_f32_e32 v5, v48, v23
	v_dual_mul_f32 v11, v41, v13 :: v_dual_fmac_f32 v0, v44, v16
	v_mul_f32_e32 v13, v43, v15
	v_mul_f32_e32 v15, v42, v15
	s_wait_loadcnt 0x8
	v_mul_f32_e32 v7, v50, v25
	v_dual_fmac_f32 v11, v40, v12 :: v_dual_mul_f32 v4, v49, v23
	v_fma_f32 v12, v41, v12, -v8
	v_dual_fmac_f32 v13, v42, v14 :: v_dual_mul_f32 v6, v51, v25
	v_fma_f32 v14, v43, v14, -v15
	s_wait_loadcnt 0x7
	v_dual_mul_f32 v8, v53, v27 :: v_dual_mul_f32 v3, v46, v21
	v_fmac_f32_e32 v4, v48, v22
	s_wait_loadcnt 0x6
	v_mul_f32_e32 v10, v55, v31
	ds_store_2addr_b64 v72, v[11:12], v[13:14] offset0:97 offset1:142
	v_dual_mul_f32 v9, v52, v27 :: v_dual_fmac_f32 v6, v50, v24
	s_wait_loadcnt 0x5
	v_mul_f32_e32 v12, v57, v33
	v_dual_fmac_f32 v8, v52, v26 :: v_dual_mul_f32 v11, v54, v31
	v_mul_f32_e32 v13, v56, v33
	v_fma_f32 v1, v45, v16, -v1
	s_wait_loadcnt 0x4
	v_mul_f32_e32 v14, v59, v35
	v_mul_f32_e32 v15, v58, v35
	s_wait_loadcnt 0x2
	v_dual_fmac_f32 v10, v54, v30 :: v_dual_mul_f32 v17, v60, v65
	s_wait_loadcnt 0x0
	v_dual_fmac_f32 v12, v56, v32 :: v_dual_mul_f32 v19, v62, v67
	v_mul_f32_e32 v16, v61, v65
	v_mul_f32_e32 v18, v63, v67
	v_fma_f32 v3, v47, v20, -v3
	v_fma_f32 v5, v49, v22, -v5
	v_fma_f32 v7, v51, v24, -v7
	v_fma_f32 v9, v53, v26, -v9
	v_fma_f32 v11, v55, v30, -v11
	v_fma_f32 v13, v57, v32, -v13
	v_fmac_f32_e32 v14, v58, v34
	v_fma_f32 v15, v59, v34, -v15
	v_fmac_f32_e32 v16, v60, v64
	v_fma_f32 v17, v61, v64, -v17
	;; [unrolled: 2-line block ×3, first 2 shown]
	ds_store_2addr_b64 v73, v[0:1], v[2:3] offset0:59 offset1:104
	ds_store_2addr_b64 v73, v[4:5], v[6:7] offset0:149 offset1:194
	ds_store_2addr_b64 v74, v[8:9], v[10:11] offset0:111 offset1:156
	ds_store_2addr_b64 v75, v[12:13], v[14:15] offset0:73 offset1:118
	ds_store_2addr_b64 v75, v[16:17], v[18:19] offset0:163 offset1:208
.LBB0_3:
	s_or_b32 exec_lo, exec_lo, s3
	s_clause 0x1
	s_load_b64 s[4:5], s[0:1], 0x20
	s_load_b64 s[2:3], s[0:1], 0x8
	v_mov_b32_e32 v0, 0
	v_mov_b32_e32 v1, 0
                                        ; kill: def $vgpr2 killed $sgpr0 killed $exec
	global_wb scope:SCOPE_SE
	s_wait_dscnt 0x0
	s_wait_kmcnt 0x0
	s_barrier_signal -1
	s_barrier_wait -1
	global_inv scope:SCOPE_SE
                                        ; implicit-def: $vgpr18
                                        ; implicit-def: $vgpr12
                                        ; implicit-def: $vgpr8
                                        ; implicit-def: $vgpr4
                                        ; implicit-def: $vgpr32
                                        ; implicit-def: $vgpr22
                                        ; implicit-def: $vgpr26
                                        ; implicit-def: $vgpr30
	s_and_saveexec_b32 s0, vcc_lo
	s_cbranch_execz .LBB0_5
; %bb.4:
	v_lshl_add_u32 v32, v94, 3, v93
	ds_load_2addr_b64 v[0:3], v32 offset1:45
	ds_load_2addr_b64 v[28:31], v32 offset0:90 offset1:135
	v_add_nc_u32_e32 v4, 0x800, v32
	v_add_nc_u32_e32 v5, 0x1000, v32
	ds_load_2addr_b64 v[24:27], v32 offset0:180 offset1:225
	ds_load_2addr_b64 v[20:23], v4 offset0:14 offset1:59
	ds_load_2addr_b64 v[16:19], v4 offset0:104 offset1:149
	ds_load_2addr_b64 v[12:15], v4 offset0:194 offset1:239
	ds_load_2addr_b64 v[8:11], v5 offset0:28 offset1:73
	ds_load_2addr_b64 v[4:7], v5 offset0:118 offset1:163
	ds_load_b64 v[32:33], v32 offset:5760
.LBB0_5:
	s_wait_alu 0xfffe
	s_or_b32 exec_lo, exec_lo, s0
	s_wait_dscnt 0x0
	v_dual_sub_f32 v40, v2, v32 :: v_dual_sub_f32 v103, v28, v6
	v_dual_sub_f32 v78, v3, v33 :: v_dual_add_f32 v43, v6, v28
	s_delay_alu instid0(VALU_DEP_2) | instskip(SKIP_2) | instid1(VALU_DEP_3)
	v_dual_add_f32 v44, v33, v3 :: v_dual_mul_f32 v71, 0xbf2c7751, v40
	v_dual_mul_f32 v60, 0xbeb8f4ab, v40 :: v_dual_add_f32 v45, v7, v29
	v_dual_add_f32 v42, v32, v2 :: v_dual_sub_f32 v81, v29, v7
	v_fma_f32 v37, 0x3f3d2fb0, v44, -v71
	s_delay_alu instid0(VALU_DEP_3) | instskip(SKIP_1) | instid1(VALU_DEP_4)
	v_fma_f32 v35, 0x3f6eb680, v44, -v60
	v_mul_f32_e32 v58, 0xbeb8f4ab, v78
	v_dual_mul_f32 v66, 0xbf2c7751, v78 :: v_dual_mul_f32 v59, 0xbf2c7751, v81
	s_delay_alu instid0(VALU_DEP_4) | instskip(NEXT) | instid1(VALU_DEP_3)
	v_add_f32_e32 v37, v37, v1
	v_dual_add_f32 v35, v35, v1 :: v_dual_fmamk_f32 v34, v42, 0x3f6eb680, v58
	s_delay_alu instid0(VALU_DEP_3) | instskip(SKIP_2) | instid1(VALU_DEP_4)
	v_dual_sub_f32 v117, v30, v4 :: v_dual_fmamk_f32 v38, v43, 0x3f3d2fb0, v59
	v_mul_f32_e32 v75, 0xbf7ee86f, v103
	v_dual_fmamk_f32 v36, v42, 0x3f3d2fb0, v66 :: v_dual_add_f32 v47, v5, v31
	v_add_f32_e32 v34, v34, v0
	s_delay_alu instid0(VALU_DEP_4) | instskip(NEXT) | instid1(VALU_DEP_4)
	v_dual_add_f32 v46, v4, v30 :: v_dual_mul_f32 v79, 0xbf4c4adb, v117
	v_fma_f32 v39, 0x3dbcf732, v45, -v75
	v_mul_f32_e32 v62, 0xbf2c7751, v103
	v_sub_f32_e32 v100, v31, v5
	v_add_f32_e32 v34, v38, v34
	v_sub_f32_e32 v120, v25, v11
	v_mul_f32_e32 v70, 0xbf7ee86f, v81
	v_add_f32_e32 v37, v39, v37
	v_fma_f32 v38, 0x3f3d2fb0, v45, -v62
	v_add_f32_e32 v36, v36, v0
	v_mul_f32_e32 v61, 0xbf65296c, v100
	v_mul_f32_e32 v63, 0xbf7ee86f, v120
	v_dual_add_f32 v48, v10, v24 :: v_dual_sub_f32 v135, v27, v9
	v_dual_add_f32 v35, v38, v35 :: v_dual_fmamk_f32 v38, v43, 0x3dbcf732, v70
	v_dual_sub_f32 v133, v24, v10 :: v_dual_mul_f32 v64, 0xbf65296c, v117
	v_fmamk_f32 v41, v46, 0x3ee437d1, v61
	v_fma_f32 v39, 0xbf1a4643, v47, -v79
	s_delay_alu instid0(VALU_DEP_4)
	v_add_f32_e32 v36, v38, v36
	v_mul_f32_e32 v74, 0xbf4c4adb, v100
	v_fma_f32 v38, 0x3ee437d1, v47, -v64
	v_dual_add_f32 v34, v41, v34 :: v_dual_add_f32 v49, v11, v25
	v_mul_f32_e32 v67, 0xbf7ee86f, v133
	v_add_f32_e32 v37, v39, v37
	s_delay_alu instid0(VALU_DEP_4) | instskip(SKIP_3) | instid1(VALU_DEP_3)
	v_add_f32_e32 v35, v38, v35
	v_dual_fmamk_f32 v38, v46, 0xbf1a4643, v74 :: v_dual_add_f32 v51, v9, v27
	v_fmamk_f32 v41, v48, 0x3dbcf732, v63
	v_dual_mul_f32 v86, 0xbe3c28d5, v133 :: v_dual_sub_f32 v159, v21, v15
	v_dual_add_f32 v36, v38, v36 :: v_dual_mul_f32 v65, 0xbf763a35, v135
	v_fma_f32 v38, 0x3dbcf732, v49, -v67
	v_mul_f32_e32 v80, 0xbe3c28d5, v120
	v_mul_f32_e32 v85, 0x3f06c442, v135
	v_sub_f32_e32 v177, v16, v18
	global_wb scope:SCOPE_SE
	v_dual_add_f32 v35, v38, v35 :: v_dual_add_f32 v34, v41, v34
	v_fmamk_f32 v39, v48, 0xbf7ba420, v80
	v_fma_f32 v41, 0xbf7ba420, v49, -v86
	v_dual_sub_f32 v152, v26, v8 :: v_dual_add_f32 v53, v15, v21
	s_delay_alu instid0(VALU_DEP_3) | instskip(NEXT) | instid1(VALU_DEP_3)
	v_dual_mul_f32 v97, 0x3f763a35, v159 :: v_dual_add_f32 v36, v39, v36
	v_dual_add_f32 v37, v41, v37 :: v_dual_add_f32 v50, v8, v26
	s_delay_alu instid0(VALU_DEP_3) | instskip(SKIP_2) | instid1(VALU_DEP_3)
	v_dual_mul_f32 v69, 0xbf763a35, v152 :: v_dual_sub_f32 v164, v20, v14
	v_mul_f32_e32 v105, 0x3f06c442, v152
	s_barrier_signal -1
	v_fmamk_f32 v39, v50, 0xbf59a7d5, v85
	v_fmamk_f32 v52, v50, 0xbe8c1d8e, v65
	v_fma_f32 v38, 0xbe8c1d8e, v51, -v69
	v_dual_mul_f32 v68, 0xbf4c4adb, v159 :: v_dual_mul_f32 v73, 0xbf4c4adb, v164
	v_fma_f32 v41, 0xbf59a7d5, v51, -v105
	s_delay_alu instid0(VALU_DEP_4) | instskip(SKIP_4) | instid1(VALU_DEP_4)
	v_add_f32_e32 v34, v52, v34
	v_add_f32_e32 v52, v14, v20
	;; [unrolled: 1-line block ×3, first 2 shown]
	v_fma_f32 v38, 0xbf1a4643, v53, -v73
	v_dual_add_f32 v37, v41, v37 :: v_dual_add_f32 v36, v39, v36
	v_dual_fmamk_f32 v54, v52, 0xbf1a4643, v68 :: v_dual_sub_f32 v169, v23, v13
	s_delay_alu instid0(VALU_DEP_3) | instskip(SKIP_1) | instid1(VALU_DEP_3)
	v_dual_add_f32 v35, v38, v35 :: v_dual_mul_f32 v118, 0x3f763a35, v164
	v_dual_sub_f32 v179, v22, v12 :: v_dual_fmamk_f32 v38, v52, 0xbe8c1d8e, v97
	v_add_f32_e32 v34, v54, v34
	v_dual_add_f32 v54, v12, v22 :: v_dual_add_f32 v55, v13, v23
	s_delay_alu instid0(VALU_DEP_3) | instskip(SKIP_3) | instid1(VALU_DEP_4)
	v_dual_mul_f32 v72, 0xbf06c442, v169 :: v_dual_mul_f32 v77, 0xbf06c442, v179
	v_dual_mul_f32 v106, 0x3f65296c, v169 :: v_dual_mul_f32 v131, 0x3f65296c, v179
	v_fma_f32 v39, 0xbe8c1d8e, v53, -v118
	v_add_f32_e32 v36, v38, v36
	v_fma_f32 v38, 0xbf59a7d5, v55, -v77
	s_delay_alu instid0(VALU_DEP_4) | instskip(NEXT) | instid1(VALU_DEP_4)
	v_dual_fmamk_f32 v56, v54, 0x3ee437d1, v106 :: v_dual_sub_f32 v175, v17, v19
	v_add_f32_e32 v37, v39, v37
	v_fmamk_f32 v41, v54, 0xbf59a7d5, v72
	s_delay_alu instid0(VALU_DEP_3) | instskip(SKIP_2) | instid1(VALU_DEP_4)
	v_dual_add_f32 v35, v38, v35 :: v_dual_add_f32 v36, v56, v36
	v_fma_f32 v38, 0x3ee437d1, v55, -v131
	v_add_f32_e32 v56, v18, v16
	v_add_f32_e32 v34, v41, v34
	v_dual_mul_f32 v128, 0x3eb8f4ab, v175 :: v_dual_add_f32 v57, v19, v17
	s_delay_alu instid0(VALU_DEP_4) | instskip(SKIP_1) | instid1(VALU_DEP_3)
	v_dual_mul_f32 v76, 0xbe3c28d5, v175 :: v_dual_add_f32 v37, v38, v37
	v_mul_f32_e32 v83, 0xbe3c28d5, v177
	v_fmamk_f32 v41, v56, 0x3f6eb680, v128
	s_barrier_wait -1
	s_delay_alu instid0(VALU_DEP_3) | instskip(SKIP_3) | instid1(VALU_DEP_2)
	v_fmamk_f32 v38, v56, 0xbf7ba420, v76
	global_inv scope:SCOPE_SE
	v_fma_f32 v39, 0xbf7ba420, v57, -v83
	v_dual_add_f32 v91, v41, v36 :: v_dual_mul_f32 v136, 0x3eb8f4ab, v177
	v_dual_add_f32 v89, v38, v34 :: v_dual_add_f32 v90, v39, v35
	s_delay_alu instid0(VALU_DEP_2) | instskip(NEXT) | instid1(VALU_DEP_1)
	v_fma_f32 v82, 0x3f6eb680, v57, -v136
	v_add_f32_e32 v92, v82, v37
	s_and_saveexec_b32 s0, vcc_lo
	s_cbranch_execz .LBB0_7
; %bb.6:
	v_mul_f32_e32 v124, 0xbe3c28d5, v78
	v_mul_f32_e32 v119, 0x3eb8f4ab, v81
	;; [unrolled: 1-line block ×3, first 2 shown]
	v_dual_mul_f32 v102, 0xbf4c4adb, v152 :: v_dual_mul_f32 v99, 0xbf4c4adb, v135
	s_delay_alu instid0(VALU_DEP_4)
	v_fma_f32 v37, 0xbf7ba420, v42, -v124
	v_mul_f32_e32 v104, 0x3f2c7751, v133
	v_fma_f32 v38, 0x3f6eb680, v43, -v119
	v_fma_f32 v39, 0xbf59a7d5, v46, -v113
	v_dual_mul_f32 v84, 0x3f65296c, v159 :: v_dual_mul_f32 v139, 0x3f65296c, v81
	v_add_f32_e32 v37, v37, v0
	v_mul_f32_e32 v126, 0xbe3c28d5, v40
	v_dual_mul_f32 v98, 0x3f65296c, v164 :: v_dual_mul_f32 v123, 0x3f65296c, v103
	v_mul_f32_e32 v145, 0x3f7ee86f, v152
	s_delay_alu instid0(VALU_DEP_3) | instskip(SKIP_2) | instid1(VALU_DEP_3)
	v_dual_add_f32 v37, v38, v37 :: v_dual_fmamk_f32 v34, v44, 0xbf7ba420, v126
	v_mul_f32_e32 v176, 0xbf7ee86f, v40
	v_dual_mul_f32 v116, 0x3f4c4adb, v133 :: v_dual_mul_f32 v129, 0x3f4c4adb, v120
	v_add_f32_e32 v37, v39, v37
	v_fma_f32 v39, 0xbf1a4643, v50, -v99
	v_mul_f32_e32 v110, 0x3f2c7751, v120
	v_dual_mul_f32 v125, 0x3eb8f4ab, v103 :: v_dual_add_f32 v34, v34, v1
	v_fmamk_f32 v134, v51, 0x3dbcf732, v145
	v_mul_f32_e32 v166, 0x3f06c442, v103
	s_delay_alu instid0(VALU_DEP_4) | instskip(NEXT) | instid1(VALU_DEP_4)
	v_fma_f32 v38, 0x3f3d2fb0, v48, -v110
	v_fmamk_f32 v35, v45, 0x3f6eb680, v125
	v_mul_f32_e32 v121, 0xbf06c442, v117
	v_fmamk_f32 v180, v44, 0x3dbcf732, v176
	s_delay_alu instid0(VALU_DEP_4) | instskip(NEXT) | instid1(VALU_DEP_4)
	v_dual_mul_f32 v144, 0xbf2c7751, v159 :: v_dual_add_f32 v37, v38, v37
	v_dual_add_f32 v34, v35, v34 :: v_dual_fmamk_f32 v35, v49, 0x3f3d2fb0, v104
	s_delay_alu instid0(VALU_DEP_3) | instskip(NEXT) | instid1(VALU_DEP_3)
	v_add_f32_e32 v183, v180, v1
	v_fma_f32 v155, 0x3f3d2fb0, v52, -v144
	s_delay_alu instid0(VALU_DEP_4)
	v_add_f32_e32 v37, v39, v37
	v_fma_f32 v39, 0x3ee437d1, v43, -v139
	v_mul_f32_e32 v122, 0xbf06c442, v40
	v_dual_fmamk_f32 v36, v47, 0xbf59a7d5, v121 :: v_dual_fmamk_f32 v151, v45, 0xbf59a7d5, v166
	v_mul_f32_e32 v180, 0x3f763a35, v117
	v_mul_f32_e32 v108, 0xbe3c28d5, v164
	s_delay_alu instid0(VALU_DEP_4) | instskip(NEXT) | instid1(VALU_DEP_4)
	v_fmamk_f32 v41, v44, 0xbf59a7d5, v122
	v_dual_mul_f32 v87, 0xbf763a35, v179 :: v_dual_add_f32 v34, v36, v34
	v_fmamk_f32 v36, v51, 0xbf1a4643, v102
	s_delay_alu instid0(VALU_DEP_3) | instskip(SKIP_1) | instid1(VALU_DEP_4)
	v_dual_mul_f32 v115, 0x3f7ee86f, v175 :: v_dual_add_f32 v38, v41, v1
	v_fmamk_f32 v187, v47, 0xbe8c1d8e, v180
	v_dual_add_f32 v34, v35, v34 :: v_dual_fmamk_f32 v35, v53, 0x3ee437d1, v98
	v_mul_f32_e32 v150, 0x3f2c7751, v117
	v_dual_mul_f32 v112, 0xbf763a35, v177 :: v_dual_mul_f32 v107, 0xbf763a35, v175
	s_delay_alu instid0(VALU_DEP_3) | instskip(SKIP_1) | instid1(VALU_DEP_4)
	v_add_f32_e32 v34, v36, v34
	v_fmamk_f32 v36, v55, 0xbe8c1d8e, v87
	v_fmamk_f32 v156, v47, 0x3f3d2fb0, v150
	v_mul_f32_e32 v148, 0xbeb8f4ab, v117
	s_delay_alu instid0(VALU_DEP_4) | instskip(SKIP_2) | instid1(VALU_DEP_3)
	v_dual_mul_f32 v165, 0xbf763a35, v40 :: v_dual_add_f32 v34, v35, v34
	v_dual_mul_f32 v138, 0xbf06c442, v78 :: v_dual_mul_f32 v149, 0xbf06c442, v133
	v_dual_mul_f32 v146, 0xbf4c4adb, v40 :: v_dual_mul_f32 v157, 0xbf4c4adb, v78
	v_add_f32_e32 v34, v36, v34
	v_mul_f32_e32 v82, 0x3f7ee86f, v177
	v_fmamk_f32 v36, v45, 0x3ee437d1, v123
	v_fma_f32 v41, 0xbf1a4643, v48, -v129
	v_mul_f32_e32 v132, 0xbe3c28d5, v159
	v_mul_f32_e32 v130, 0x3f2c7751, v169
	v_dual_mul_f32 v154, 0xbe3c28d5, v179 :: v_dual_mul_f32 v167, 0xbe3c28d5, v152
	v_dual_add_f32 v36, v36, v38 :: v_dual_mul_f32 v111, 0xbf7ee86f, v117
	v_fmamk_f32 v35, v57, 0x3dbcf732, v82
	v_mul_f32_e32 v101, 0xbeb8f4ab, v152
	v_mul_f32_e32 v178, 0xbe3c28d5, v103
	;; [unrolled: 1-line block ×3, first 2 shown]
	v_fmamk_f32 v38, v47, 0x3dbcf732, v111
	v_add_f32_e32 v35, v35, v34
	v_fma_f32 v34, 0x3ee437d1, v52, -v84
	v_fmamk_f32 v184, v45, 0xbf7ba420, v178
	s_delay_alu instid0(VALU_DEP_4) | instskip(SKIP_1) | instid1(VALU_DEP_4)
	v_dual_mul_f32 v147, 0x3f763a35, v103 :: v_dual_add_f32 v36, v38, v36
	v_fmamk_f32 v38, v49, 0xbf1a4643, v116
	v_add_f32_e32 v34, v34, v37
	v_dual_mul_f32 v172, 0xbf763a35, v78 :: v_dual_add_f32 v3, v3, v1
	v_mul_f32_e32 v168, 0x3f7ee86f, v164
	s_delay_alu instid0(VALU_DEP_4) | instskip(SKIP_1) | instid1(VALU_DEP_4)
	v_add_f32_e32 v36, v38, v36
	v_fmamk_f32 v38, v51, 0x3f6eb680, v101
	v_dual_add_f32 v2, v2, v0 :: v_dual_add_f32 v3, v29, v3
	v_mul_f32_e32 v174, 0x3f2c7751, v100
	v_fmac_f32_e32 v144, 0x3f3d2fb0, v52
	s_delay_alu instid0(VALU_DEP_4)
	v_add_f32_e32 v36, v38, v36
	v_fmamk_f32 v38, v53, 0xbf7ba420, v108
	v_add_f32_e32 v2, v28, v2
	v_fmamk_f32 v162, v53, 0x3dbcf732, v168
	v_fma_f32 v163, 0x3f3d2fb0, v46, -v174
	v_add_f32_e32 v194, v31, v3
	v_add_f32_e32 v36, v38, v36
	v_fmamk_f32 v38, v55, 0x3f3d2fb0, v109
	v_mul_f32_e32 v127, 0xbf7ee86f, v100
	v_dual_add_f32 v195, v30, v2 :: v_dual_mul_f32 v30, 0x3f4c4adb, v179
	s_delay_alu instid0(VALU_DEP_3) | instskip(SKIP_2) | instid1(VALU_DEP_4)
	v_dual_mul_f32 v137, 0xbeb8f4ab, v135 :: v_dual_add_f32 v36, v38, v36
	v_fmamk_f32 v38, v57, 0xbe8c1d8e, v112
	v_mul_f32_e32 v114, 0xbf763a35, v169
	v_dual_add_f32 v24, v24, v195 :: v_dual_mul_f32 v153, 0xbf2c7751, v164
	v_mul_f32_e32 v143, 0x3f7ee86f, v135
	v_add_f32_e32 v183, v184, v183
	s_delay_alu instid0(VALU_DEP_4) | instskip(SKIP_2) | instid1(VALU_DEP_3)
	v_fma_f32 v37, 0xbe8c1d8e, v54, -v114
	v_mul_f32_e32 v184, 0xbf7ee86f, v78
	v_dual_add_f32 v24, v26, v24 :: v_dual_mul_f32 v173, 0x3f06c442, v81
	v_dual_mul_f32 v103, 0xbf4c4adb, v103 :: v_dual_add_f32 v34, v37, v34
	v_fma_f32 v37, 0x3dbcf732, v56, -v115
	s_delay_alu instid0(VALU_DEP_3) | instskip(NEXT) | instid1(VALU_DEP_4)
	v_add_f32_e32 v20, v20, v24
	v_fma_f32 v161, 0xbf59a7d5, v43, -v173
	v_mul_f32_e32 v117, 0x3e3c28d5, v117
	v_fmac_f32_e32 v113, 0xbf59a7d5, v46
	v_add_f32_e32 v34, v37, v34
	v_fma_f32 v37, 0xbf59a7d5, v42, -v138
	v_dual_add_f32 v20, v22, v20 :: v_dual_fmac_f32 v119, 0x3f6eb680, v43
	v_fmac_f32_e32 v99, 0xbf1a4643, v50
	v_fmac_f32_e32 v139, 0x3ee437d1, v43
	s_delay_alu instid0(VALU_DEP_4) | instskip(SKIP_3) | instid1(VALU_DEP_4)
	v_add_f32_e32 v37, v37, v0
	v_fmac_f32_e32 v115, 0x3dbcf732, v56
	v_fmac_f32_e32 v129, 0xbf1a4643, v48
	v_fmac_f32_e32 v173, 0xbf59a7d5, v43
	v_add_f32_e32 v37, v39, v37
	v_fma_f32 v39, 0x3dbcf732, v46, -v127
	v_fmac_f32_e32 v127, 0x3dbcf732, v46
	s_delay_alu instid0(VALU_DEP_2) | instskip(SKIP_1) | instid1(VALU_DEP_2)
	v_add_f32_e32 v39, v39, v37
	v_dual_add_f32 v37, v38, v36 :: v_dual_fmamk_f32 v36, v44, 0xbf1a4643, v146
	v_add_f32_e32 v38, v41, v39
	v_fma_f32 v39, 0x3f6eb680, v50, -v137
	s_delay_alu instid0(VALU_DEP_3) | instskip(SKIP_1) | instid1(VALU_DEP_3)
	v_dual_add_f32 v36, v36, v1 :: v_dual_fmamk_f32 v41, v45, 0xbe8c1d8e, v147
	v_fmac_f32_e32 v137, 0x3f6eb680, v50
	v_add_f32_e32 v38, v39, v38
	v_fma_f32 v39, 0xbf7ba420, v52, -v132
	s_delay_alu instid0(VALU_DEP_4) | instskip(NEXT) | instid1(VALU_DEP_2)
	v_dual_add_f32 v36, v41, v36 :: v_dual_fmamk_f32 v41, v47, 0x3f6eb680, v148
	v_add_f32_e32 v38, v39, v38
	v_fma_f32 v39, 0x3f3d2fb0, v54, -v130
	s_delay_alu instid0(VALU_DEP_3) | instskip(NEXT) | instid1(VALU_DEP_2)
	v_add_f32_e32 v36, v41, v36
	v_dual_fmamk_f32 v41, v49, 0xbf59a7d5, v149 :: v_dual_add_f32 v38, v39, v38
	v_fma_f32 v39, 0xbe8c1d8e, v56, -v107
	s_delay_alu instid0(VALU_DEP_2) | instskip(NEXT) | instid1(VALU_DEP_2)
	v_add_f32_e32 v41, v41, v36
	v_dual_fmac_f32 v107, 0xbe8c1d8e, v56 :: v_dual_add_f32 v36, v39, v38
	s_delay_alu instid0(VALU_DEP_2) | instskip(SKIP_4) | instid1(VALU_DEP_4)
	v_add_f32_e32 v39, v134, v41
	v_fmamk_f32 v41, v53, 0x3f3d2fb0, v153
	v_mul_f32_e32 v134, 0x3f65296c, v177
	v_fma_f32 v38, 0xbf1a4643, v42, -v157
	v_fmac_f32_e32 v157, 0xbf1a4643, v42
	v_add_f32_e32 v39, v41, v39
	s_delay_alu instid0(VALU_DEP_3) | instskip(NEXT) | instid1(VALU_DEP_1)
	v_dual_fmamk_f32 v41, v55, 0xbf7ba420, v154 :: v_dual_add_f32 v38, v38, v0
	v_add_f32_e32 v39, v41, v39
	v_fmamk_f32 v41, v57, 0x3ee437d1, v134
	s_delay_alu instid0(VALU_DEP_1) | instskip(SKIP_1) | instid1(VALU_DEP_1)
	v_add_f32_e32 v39, v41, v39
	v_fmamk_f32 v41, v44, 0xbe8c1d8e, v165
	v_dual_add_f32 v41, v41, v1 :: v_dual_fmac_f32 v132, 0xbf7ba420, v52
	s_delay_alu instid0(VALU_DEP_1) | instskip(SKIP_1) | instid1(VALU_DEP_1)
	v_add_f32_e32 v41, v151, v41
	v_mul_f32_e32 v151, 0xbf65296c, v133
	v_dual_add_f32 v41, v156, v41 :: v_dual_fmamk_f32 v156, v49, 0x3ee437d1, v151
	s_delay_alu instid0(VALU_DEP_1) | instskip(NEXT) | instid1(VALU_DEP_1)
	v_dual_add_f32 v41, v156, v41 :: v_dual_fmamk_f32 v156, v51, 0xbf7ba420, v167
	v_dual_mul_f32 v140, 0xbeb8f4ab, v100 :: v_dual_add_f32 v41, v156, v41
	v_mul_f32_e32 v142, 0xbf06c442, v120
	s_delay_alu instid0(VALU_DEP_2) | instskip(SKIP_1) | instid1(VALU_DEP_2)
	v_dual_mul_f32 v156, 0x3f65296c, v175 :: v_dual_add_f32 v41, v162, v41
	v_mul_f32_e32 v162, 0xbe3c28d5, v135
	v_fma_f32 v181, 0x3ee437d1, v56, -v156
	s_delay_alu instid0(VALU_DEP_2) | instskip(SKIP_1) | instid1(VALU_DEP_1)
	v_fma_f32 v171, 0xbf7ba420, v50, -v162
	v_mul_f32_e32 v158, 0x3f763a35, v81
	v_fma_f32 v141, 0xbe8c1d8e, v43, -v158
	s_delay_alu instid0(VALU_DEP_1) | instskip(SKIP_1) | instid1(VALU_DEP_1)
	v_add_f32_e32 v38, v141, v38
	v_fma_f32 v141, 0x3f6eb680, v46, -v140
	v_add_f32_e32 v38, v141, v38
	v_fma_f32 v141, 0xbf59a7d5, v48, -v142
	s_delay_alu instid0(VALU_DEP_1) | instskip(SKIP_2) | instid1(VALU_DEP_2)
	v_add_f32_e32 v38, v141, v38
	v_fma_f32 v141, 0x3dbcf732, v50, -v143
	v_fmac_f32_e32 v143, 0x3dbcf732, v50
	v_dual_add_f32 v38, v141, v38 :: v_dual_mul_f32 v141, 0xbe3c28d5, v169
	s_delay_alu instid0(VALU_DEP_1) | instskip(NEXT) | instid1(VALU_DEP_2)
	v_add_f32_e32 v38, v155, v38
	v_fma_f32 v155, 0xbf7ba420, v54, -v141
	v_fmac_f32_e32 v141, 0xbf7ba420, v54
	s_delay_alu instid0(VALU_DEP_2) | instskip(SKIP_2) | instid1(VALU_DEP_2)
	v_add_f32_e32 v38, v155, v38
	v_fma_f32 v155, 0xbe8c1d8e, v42, -v172
	v_fmac_f32_e32 v172, 0xbe8c1d8e, v42
	v_dual_add_f32 v160, v155, v0 :: v_dual_mul_f32 v155, 0xbeb8f4ab, v179
	s_delay_alu instid0(VALU_DEP_1) | instskip(SKIP_1) | instid1(VALU_DEP_3)
	v_add_f32_e32 v160, v161, v160
	v_mul_f32_e32 v161, 0xbf65296c, v120
	v_fmamk_f32 v170, v55, 0x3f6eb680, v155
	s_delay_alu instid0(VALU_DEP_3) | instskip(NEXT) | instid1(VALU_DEP_3)
	v_add_f32_e32 v160, v163, v160
	v_fma_f32 v163, 0x3ee437d1, v48, -v161
	s_delay_alu instid0(VALU_DEP_3) | instskip(SKIP_1) | instid1(VALU_DEP_3)
	v_dual_add_f32 v41, v170, v41 :: v_dual_mul_f32 v170, 0x3f7ee86f, v159
	v_fmac_f32_e32 v161, 0x3ee437d1, v48
	v_dual_add_f32 v163, v163, v160 :: v_dual_mul_f32 v160, 0xbf4c4adb, v177
	s_delay_alu instid0(VALU_DEP_3) | instskip(NEXT) | instid1(VALU_DEP_2)
	v_fma_f32 v182, 0x3dbcf732, v52, -v170
	v_add_f32_e32 v171, v171, v163
	v_mul_f32_e32 v163, 0xbeb8f4ab, v169
	s_delay_alu instid0(VALU_DEP_4) | instskip(SKIP_1) | instid1(VALU_DEP_4)
	v_fmamk_f32 v185, v57, 0xbf1a4643, v160
	v_dual_add_f32 v38, v181, v38 :: v_dual_add_f32 v181, v187, v183
	v_dual_add_f32 v182, v182, v171 :: v_dual_mul_f32 v187, 0xbf65296c, v152
	s_delay_alu instid0(VALU_DEP_4) | instskip(SKIP_2) | instid1(VALU_DEP_4)
	v_fma_f32 v186, 0x3f6eb680, v54, -v163
	v_mul_f32_e32 v171, 0x3eb8f4ab, v133
	v_fma_f32 v183, 0x3dbcf732, v42, -v184
	v_dual_add_f32 v41, v185, v41 :: v_dual_fmamk_f32 v192, v51, 0x3ee437d1, v187
	s_delay_alu instid0(VALU_DEP_4)
	v_add_f32_e32 v190, v186, v182
	v_mul_f32_e32 v186, 0xbe3c28d5, v81
	v_fmamk_f32 v182, v49, 0x3f6eb680, v171
	v_add_f32_e32 v188, v183, v0
	v_mul_f32_e32 v183, 0x3f763a35, v100
	v_mul_f32_e32 v185, 0xbf4c4adb, v175
	v_fma_f32 v189, 0xbf7ba420, v43, -v186
	v_dual_add_f32 v191, v182, v181 :: v_dual_mul_f32 v182, 0x3eb8f4ab, v120
	v_mul_f32_e32 v152, 0x3f2c7751, v152
	s_delay_alu instid0(VALU_DEP_4) | instskip(NEXT) | instid1(VALU_DEP_4)
	v_fma_f32 v193, 0xbf1a4643, v56, -v185
	v_add_f32_e32 v181, v189, v188
	v_fma_f32 v188, 0xbe8c1d8e, v46, -v183
	v_fma_f32 v29, 0x3f6eb680, v48, -v182
	v_add_f32_e32 v189, v192, v191
	v_fmamk_f32 v191, v55, 0xbf1a4643, v30
	v_mul_f32_e32 v120, 0x3f763a35, v120
	v_dual_add_f32 v28, v188, v181 :: v_dual_mul_f32 v181, 0xbf65296c, v135
	v_mul_f32_e32 v135, 0x3f2c7751, v135
	v_mul_f32_e32 v188, 0xbf06c442, v164
	;; [unrolled: 1-line block ×3, first 2 shown]
	s_delay_alu instid0(VALU_DEP_4) | instskip(SKIP_4) | instid1(VALU_DEP_4)
	v_add_f32_e32 v3, v29, v28
	v_fma_f32 v28, 0x3ee437d1, v50, -v181
	v_mul_f32_e32 v29, 0xbf06c442, v159
	v_fmamk_f32 v2, v53, 0xbf59a7d5, v188
	v_fmac_f32_e32 v163, 0x3f6eb680, v54
	v_dual_fmac_f32 v174, 0x3f3d2fb0, v46 :: v_dual_add_f32 v3, v28, v3
	s_delay_alu instid0(VALU_DEP_4) | instskip(SKIP_2) | instid1(VALU_DEP_3)
	v_fma_f32 v31, 0xbf59a7d5, v52, -v29
	v_mul_f32_e32 v28, 0x3f4c4adb, v169
	v_dual_add_f32 v2, v2, v189 :: v_dual_mul_f32 v189, 0xbf65296c, v40
	v_dual_add_f32 v40, v193, v190 :: v_dual_add_f32 v3, v31, v3
	s_delay_alu instid0(VALU_DEP_3) | instskip(NEXT) | instid1(VALU_DEP_3)
	v_fma_f32 v31, 0xbf1a4643, v54, -v28
	v_dual_add_f32 v2, v191, v2 :: v_dual_fmamk_f32 v191, v44, 0x3ee437d1, v189
	v_mul_f32_e32 v190, 0xbf65296c, v78
	s_delay_alu instid0(VALU_DEP_3) | instskip(SKIP_1) | instid1(VALU_DEP_4)
	v_dual_fmamk_f32 v78, v45, 0xbf1a4643, v103 :: v_dual_add_f32 v193, v31, v3
	v_mul_f32_e32 v31, 0x3f2c7751, v177
	v_add_f32_e32 v3, v191, v1
	s_delay_alu instid0(VALU_DEP_4) | instskip(SKIP_2) | instid1(VALU_DEP_4)
	v_fma_f32 v192, 0x3ee437d1, v42, -v190
	v_mul_f32_e32 v191, 0xbf4c4adb, v81
	v_add_f32_e32 v25, v25, v194
	v_dual_fmamk_f32 v196, v57, 0x3f3d2fb0, v31 :: v_dual_add_f32 v3, v78, v3
	v_fmamk_f32 v78, v47, 0xbf7ba420, v117
	v_mul_f32_e32 v133, 0x3f763a35, v133
	v_add_f32_e32 v81, v192, v0
	v_fma_f32 v197, 0xbf1a4643, v43, -v191
	v_mul_f32_e32 v192, 0x3e3c28d5, v100
	v_add_f32_e32 v78, v78, v3
	v_dual_fmamk_f32 v100, v49, 0xbe8c1d8e, v133 :: v_dual_add_f32 v3, v196, v2
	s_delay_alu instid0(VALU_DEP_4) | instskip(NEXT) | instid1(VALU_DEP_4)
	v_add_f32_e32 v81, v197, v81
	v_fma_f32 v197, 0xbf7ba420, v46, -v192
	v_fma_f32 v196, 0xbe8c1d8e, v48, -v120
	s_delay_alu instid0(VALU_DEP_4) | instskip(SKIP_1) | instid1(VALU_DEP_4)
	v_add_f32_e32 v2, v100, v78
	v_fmamk_f32 v100, v51, 0x3f3d2fb0, v152
	v_dual_mul_f32 v78, 0x3f2c7751, v175 :: v_dual_add_f32 v81, v197, v81
	v_fma_f32 v197, 0x3f3d2fb0, v50, -v135
	v_mul_f32_e32 v175, 0xbf06c442, v175
	v_add_f32_e32 v25, v27, v25
	s_delay_alu instid0(VALU_DEP_4) | instskip(SKIP_2) | instid1(VALU_DEP_2)
	v_fma_f32 v198, 0x3f3d2fb0, v56, -v78
	v_dual_add_f32 v196, v196, v81 :: v_dual_mul_f32 v81, 0xbeb8f4ab, v159
	v_dual_fmamk_f32 v159, v53, 0x3f6eb680, v164 :: v_dual_add_f32 v2, v100, v2
	v_dual_mul_f32 v100, 0xbf7ee86f, v179 :: v_dual_add_f32 v179, v197, v196
	s_delay_alu instid0(VALU_DEP_3) | instskip(SKIP_1) | instid1(VALU_DEP_4)
	v_fma_f32 v196, 0x3f6eb680, v52, -v81
	v_add_f32_e32 v21, v21, v25
	v_dual_add_f32 v197, v159, v2 :: v_dual_mul_f32 v2, 0x3f3d2fb0, v44
	v_mul_f32_e32 v159, 0xbf7ee86f, v169
	v_fmamk_f32 v169, v55, 0x3dbcf732, v100
	v_dual_add_f32 v179, v196, v179 :: v_dual_mul_f32 v196, 0x3dbcf732, v45
	s_delay_alu instid0(VALU_DEP_4) | instskip(NEXT) | instid1(VALU_DEP_3)
	v_dual_add_f32 v71, v71, v2 :: v_dual_add_f32 v2, v198, v193
	v_add_f32_e32 v169, v169, v197
	v_mul_f32_e32 v193, 0xbf1a4643, v47
	v_mul_f32_e32 v197, 0x3dbcf732, v43
	v_add_f32_e32 v75, v75, v196
	v_add_f32_e32 v71, v71, v1
	v_fma_f32 v199, 0x3dbcf732, v54, -v159
	v_add_f32_e32 v79, v79, v193
	v_dual_mul_f32 v193, 0xbf7ba420, v49 :: v_dual_sub_f32 v70, v197, v70
	s_delay_alu instid0(VALU_DEP_4) | instskip(SKIP_4) | instid1(VALU_DEP_4)
	v_add_f32_e32 v71, v75, v71
	v_mul_f32_e32 v75, 0x3f3d2fb0, v42
	v_mul_f32_e32 v177, 0xbf06c442, v177
	v_add_f32_e32 v179, v199, v179
	v_dual_add_f32 v21, v23, v21 :: v_dual_fmac_f32 v184, 0x3dbcf732, v42
	v_sub_f32_e32 v66, v75, v66
	v_add_f32_e32 v75, v79, v71
	v_dual_add_f32 v79, v86, v193 :: v_dual_mul_f32 v86, 0xbf59a7d5, v51
	s_delay_alu instid0(VALU_DEP_3) | instskip(NEXT) | instid1(VALU_DEP_2)
	v_dual_mul_f32 v193, 0xbf1a4643, v46 :: v_dual_add_f32 v66, v66, v0
	v_dual_fmamk_f32 v196, v57, 0xbf59a7d5, v177 :: v_dual_add_f32 v75, v79, v75
	s_delay_alu instid0(VALU_DEP_3) | instskip(SKIP_3) | instid1(VALU_DEP_4)
	v_add_f32_e32 v79, v105, v86
	v_mul_f32_e32 v105, 0xbe8c1d8e, v53
	v_fma_f32 v86, 0xbf59a7d5, v56, -v175
	v_dual_add_f32 v17, v17, v21 :: v_dual_fmac_f32 v186, 0xbf7ba420, v43
	v_dual_add_f32 v75, v79, v75 :: v_dual_add_f32 v66, v70, v66
	v_sub_f32_e32 v70, v193, v74
	v_mul_f32_e32 v74, 0xbf7ba420, v48
	v_mul_f32_e32 v79, 0xbf59a7d5, v50
	v_add_f32_e32 v17, v19, v17
	v_dual_add_f32 v19, v16, v20 :: v_dual_fmac_f32 v190, 0x3ee437d1, v42
	s_delay_alu instid0(VALU_DEP_4) | instskip(SKIP_1) | instid1(VALU_DEP_4)
	v_sub_f32_e32 v74, v74, v80
	v_dual_add_f32 v80, v118, v105 :: v_dual_mul_f32 v105, 0x3f6eb680, v56
	v_add_f32_e32 v13, v13, v17
	s_delay_alu instid0(VALU_DEP_4) | instskip(SKIP_1) | instid1(VALU_DEP_4)
	v_add_f32_e32 v17, v18, v19
	v_fma_f32 v18, 0xbf7ba420, v44, -v126
	v_dual_add_f32 v75, v80, v75 :: v_dual_add_f32 v66, v70, v66
	v_add_f32_e32 v70, v86, v179
	v_dual_mul_f32 v86, 0x3ee437d1, v55 :: v_dual_sub_f32 v105, v105, v128
	s_delay_alu instid0(VALU_DEP_3) | instskip(SKIP_2) | instid1(VALU_DEP_4)
	v_dual_add_f32 v13, v15, v13 :: v_dual_add_f32 v66, v74, v66
	v_dual_sub_f32 v74, v79, v85 :: v_dual_mul_f32 v79, 0xbe8c1d8e, v52
	v_mul_f32_e32 v85, 0x3f6eb680, v42
	v_add_f32_e32 v80, v131, v86
	v_add_f32_e32 v12, v12, v17
	s_delay_alu instid0(VALU_DEP_4) | instskip(SKIP_2) | instid1(VALU_DEP_3)
	v_dual_add_f32 v66, v74, v66 :: v_dual_sub_f32 v79, v79, v97
	v_mul_f32_e32 v97, 0x3ee437d1, v54
	v_dual_sub_f32 v58, v85, v58 :: v_dual_mul_f32 v85, 0xbf7ba420, v56
	v_dual_add_f32 v15, v18, v1 :: v_dual_add_f32 v66, v79, v66
	v_mul_f32_e32 v79, 0x3f3d2fb0, v45
	s_delay_alu instid0(VALU_DEP_4) | instskip(SKIP_2) | instid1(VALU_DEP_4)
	v_dual_sub_f32 v97, v97, v106 :: v_dual_mul_f32 v106, 0x3dbcf732, v49
	v_mul_f32_e32 v74, 0x3f6eb680, v57
	v_add_f32_e32 v58, v58, v0
	v_add_f32_e32 v62, v62, v79
	v_mul_f32_e32 v79, 0x3ee437d1, v47
	v_add_f32_e32 v67, v67, v106
	v_add_f32_e32 v74, v136, v74
	v_mul_f32_e32 v106, 0xbf59a7d5, v55
	v_fma_f32 v17, 0x3f6eb680, v45, -v125
	v_add_f32_e32 v64, v64, v79
	v_mul_f32_e32 v79, 0xbe8c1d8e, v51
	v_dual_add_f32 v75, v80, v75 :: v_dual_mul_f32 v86, 0x3f6eb680, v44
	v_dual_mul_f32 v80, 0x3f3d2fb0, v43 :: v_dual_add_f32 v9, v9, v13
	v_add_f32_e32 v12, v14, v12
	s_delay_alu instid0(VALU_DEP_3) | instskip(NEXT) | instid1(VALU_DEP_3)
	v_dual_add_f32 v75, v74, v75 :: v_dual_add_f32 v60, v60, v86
	v_dual_mul_f32 v86, 0x3ee437d1, v46 :: v_dual_sub_f32 v59, v80, v59
	v_dual_add_f32 v66, v97, v66 :: v_dual_mul_f32 v97, 0x3dbcf732, v48
	s_delay_alu instid0(VALU_DEP_3) | instskip(NEXT) | instid1(VALU_DEP_3)
	v_dual_add_f32 v60, v60, v1 :: v_dual_add_f32 v13, v17, v15
	v_dual_add_f32 v27, v59, v58 :: v_dual_sub_f32 v58, v86, v61
	v_fma_f32 v14, 0xbf59a7d5, v47, -v121
	v_dual_add_f32 v24, v77, v106 :: v_dual_add_f32 v9, v11, v9
	v_fmac_f32_e32 v124, 0xbf7ba420, v42
	s_delay_alu instid0(VALU_DEP_4) | instskip(SKIP_2) | instid1(VALU_DEP_4)
	v_add_f32_e32 v26, v58, v27
	v_dual_sub_f32 v27, v97, v63 :: v_dual_add_f32 v60, v62, v60
	v_add_f32_e32 v11, v14, v13
	v_add_f32_e32 v13, v124, v0
	;; [unrolled: 1-line block ×3, first 2 shown]
	v_fma_f32 v14, 0xbe8c1d8e, v44, -v165
	v_add_f32_e32 v60, v64, v60
	v_dual_fmac_f32 v192, 0xbf7ba420, v46 :: v_dual_add_f32 v71, v196, v169
	s_delay_alu instid0(VALU_DEP_4) | instskip(NEXT) | instid1(VALU_DEP_3)
	v_dual_add_f32 v5, v7, v5 :: v_dual_add_f32 v8, v8, v12
	v_dual_add_f32 v60, v67, v60 :: v_dual_add_f32 v67, v69, v79
	v_fma_f32 v12, 0x3f3d2fb0, v49, -v104
	s_delay_alu instid0(VALU_DEP_3) | instskip(NEXT) | instid1(VALU_DEP_4)
	v_dual_fmac_f32 v110, 0x3f3d2fb0, v48 :: v_dual_add_f32 v5, v33, v5
	v_add_f32_e32 v8, v10, v8
	s_delay_alu instid0(VALU_DEP_4) | instskip(NEXT) | instid1(VALU_DEP_4)
	v_add_f32_e32 v59, v67, v60
	v_dual_add_f32 v9, v12, v11 :: v_dual_add_f32 v74, v105, v66
	v_mul_f32_e32 v105, 0xbf1a4643, v53
	v_mul_f32_e32 v62, 0xbe8c1d8e, v50
	;; [unrolled: 1-line block ×3, first 2 shown]
	v_fma_f32 v10, 0xbf1a4643, v51, -v102
	v_add_f32_e32 v11, v119, v13
	v_add_f32_e32 v25, v73, v105
	v_dual_sub_f32 v21, v62, v65 :: v_dual_add_f32 v4, v4, v8
	s_delay_alu instid0(VALU_DEP_4) | instskip(NEXT) | instid1(VALU_DEP_4)
	v_add_f32_e32 v7, v10, v9
	v_add_f32_e32 v9, v113, v11
	s_delay_alu instid0(VALU_DEP_4) | instskip(SKIP_3) | instid1(VALU_DEP_4)
	v_add_f32_e32 v23, v25, v59
	v_dual_add_f32 v25, v27, v26 :: v_dual_mul_f32 v80, 0xbf7ba420, v57
	v_fma_f32 v8, 0x3ee437d1, v53, -v98
	v_add_f32_e32 v4, v6, v4
	v_add_f32_e32 v22, v24, v23
	s_delay_alu instid0(VALU_DEP_4) | instskip(SKIP_3) | instid1(VALU_DEP_4)
	v_dual_add_f32 v20, v21, v25 :: v_dual_sub_f32 v21, v66, v68
	v_dual_mul_f32 v64, 0xbf59a7d5, v54 :: v_dual_add_f32 v23, v83, v80
	v_add_f32_e32 v6, v8, v7
	v_fma_f32 v7, 0xbe8c1d8e, v55, -v87
	v_add_f32_e32 v19, v21, v20
	s_delay_alu instid0(VALU_DEP_4)
	v_sub_f32_e32 v20, v64, v72
	v_add_f32_e32 v8, v110, v9
	v_fma_f32 v9, 0xbf59a7d5, v44, -v122
	v_fma_f32 v10, 0x3ee437d1, v45, -v123
	;; [unrolled: 1-line block ×3, first 2 shown]
	v_dual_add_f32 v18, v20, v19 :: v_dual_sub_f32 v19, v85, v76
	s_delay_alu instid0(VALU_DEP_4) | instskip(SKIP_1) | instid1(VALU_DEP_4)
	v_dual_add_f32 v9, v9, v1 :: v_dual_add_f32 v6, v7, v6
	v_fma_f32 v7, 0x3dbcf732, v57, -v82
	v_dual_fmac_f32 v84, 0x3ee437d1, v52 :: v_dual_add_f32 v11, v11, v1
	s_delay_alu instid0(VALU_DEP_4) | instskip(SKIP_1) | instid1(VALU_DEP_4)
	v_add_f32_e32 v15, v19, v18
	v_add_f32_e32 v16, v23, v22
	;; [unrolled: 1-line block ×4, first 2 shown]
	v_fma_f32 v12, 0xbe8c1d8e, v45, -v147
	v_fmac_f32_e32 v138, 0xbf59a7d5, v42
	v_add_f32_e32 v4, v32, v4
	v_add_f32_e32 v13, v157, v0
	;; [unrolled: 1-line block ×4, first 2 shown]
	v_fma_f32 v9, 0x3dbcf732, v47, -v111
	v_dual_add_f32 v11, v12, v11 :: v_dual_add_f32 v10, v138, v0
	v_fma_f32 v12, 0x3f6eb680, v47, -v148
	v_fmac_f32_e32 v114, 0xbe8c1d8e, v54
	s_delay_alu instid0(VALU_DEP_4) | instskip(SKIP_1) | instid1(VALU_DEP_4)
	v_add_f32_e32 v8, v9, v8
	v_fma_f32 v9, 0xbf1a4643, v49, -v116
	v_dual_add_f32 v10, v139, v10 :: v_dual_add_f32 v11, v12, v11
	v_fma_f32 v12, 0xbf59a7d5, v49, -v149
	v_add_f32_e32 v6, v114, v6
	s_delay_alu instid0(VALU_DEP_4) | instskip(SKIP_1) | instid1(VALU_DEP_4)
	v_add_f32_e32 v8, v9, v8
	v_fma_f32 v9, 0x3f6eb680, v51, -v101
	v_dual_add_f32 v10, v127, v10 :: v_dual_add_f32 v11, v12, v11
	v_fma_f32 v12, 0x3dbcf732, v51, -v145
	v_add_f32_e32 v17, v172, v0
	s_delay_alu instid0(VALU_DEP_4) | instskip(SKIP_4) | instid1(VALU_DEP_4)
	v_add_f32_e32 v8, v9, v8
	v_fma_f32 v9, 0xbf7ba420, v53, -v108
	v_fmac_f32_e32 v130, 0x3f3d2fb0, v54
	v_fma_f32 v18, 0xbf7ba420, v51, -v167
	v_dual_add_f32 v17, v173, v17 :: v_dual_fmac_f32 v158, 0xbe8c1d8e, v43
	v_add_f32_e32 v8, v9, v8
	v_fma_f32 v9, 0x3f3d2fb0, v55, -v109
	v_fmac_f32_e32 v185, 0xbf1a4643, v56
	v_fmac_f32_e32 v183, 0xbe8c1d8e, v46
	;; [unrolled: 1-line block ×3, first 2 shown]
	s_delay_alu instid0(VALU_DEP_4) | instskip(SKIP_4) | instid1(VALU_DEP_4)
	v_dual_fmac_f32 v181, 0x3ee437d1, v50 :: v_dual_add_f32 v8, v9, v8
	v_fma_f32 v9, 0xbe8c1d8e, v57, -v112
	v_dual_add_f32 v6, v115, v6 :: v_dual_add_f32 v19, v184, v0
	v_add_f32_e32 v0, v190, v0
	v_fmac_f32_e32 v120, 0xbe8c1d8e, v48
	v_dual_add_f32 v9, v9, v8 :: v_dual_add_f32 v8, v12, v11
	v_fma_f32 v11, 0x3f3d2fb0, v53, -v153
	v_add_f32_e32 v10, v129, v10
	v_add_f32_e32 v12, v158, v13
	v_fma_f32 v13, 0xbf7ba420, v55, -v154
	v_add_f32_e32 v0, v191, v0
	s_delay_alu instid0(VALU_DEP_4) | instskip(SKIP_2) | instid1(VALU_DEP_4)
	v_dual_add_f32 v11, v11, v8 :: v_dual_add_f32 v10, v137, v10
	v_fmac_f32_e32 v175, 0xbf59a7d5, v56
	v_fmac_f32_e32 v29, 0xbf59a7d5, v52
	v_dual_add_f32 v0, v192, v0 :: v_dual_fmac_f32 v135, 0x3f3d2fb0, v50
	s_delay_alu instid0(VALU_DEP_4) | instskip(SKIP_2) | instid1(VALU_DEP_4)
	v_add_f32_e32 v10, v132, v10
	v_fmac_f32_e32 v159, 0x3dbcf732, v54
	v_fmac_f32_e32 v182, 0x3f6eb680, v48
	v_add_f32_e32 v0, v120, v0
	v_fmac_f32_e32 v28, 0xbf1a4643, v54
	v_add_f32_e32 v10, v130, v10
	v_fma_f32 v20, 0x3dbcf732, v55, -v100
	v_fmac_f32_e32 v78, 0x3f3d2fb0, v56
	v_add_f32_e32 v0, v135, v0
	v_fma_f32 v21, 0xbf59a7d5, v57, -v177
	v_add_f32_e32 v8, v107, v10
	v_dual_add_f32 v10, v13, v11 :: v_dual_add_f32 v11, v14, v1
	v_fma_f32 v13, 0xbf59a7d5, v45, -v166
	v_fma_f32 v14, 0x3ee437d1, v57, -v134
	v_fmac_f32_e32 v81, 0x3f6eb680, v52
	s_delay_alu instid0(VALU_DEP_3) | instskip(SKIP_1) | instid1(VALU_DEP_3)
	v_add_f32_e32 v11, v13, v11
	v_fma_f32 v13, 0x3f3d2fb0, v47, -v150
	v_add_f32_e32 v0, v81, v0
	s_delay_alu instid0(VALU_DEP_2) | instskip(SKIP_1) | instid1(VALU_DEP_1)
	v_add_f32_e32 v11, v13, v11
	v_fma_f32 v13, 0x3ee437d1, v49, -v151
	v_dual_add_f32 v22, v159, v0 :: v_dual_add_f32 v13, v13, v11
	v_add_f32_e32 v11, v14, v10
	v_fma_f32 v14, 0x3dbcf732, v53, -v168
	s_delay_alu instid0(VALU_DEP_3) | instskip(SKIP_1) | instid1(VALU_DEP_2)
	v_dual_add_f32 v13, v18, v13 :: v_dual_fmac_f32 v140, 0x3f6eb680, v46
	v_fma_f32 v18, 0xbf7ba420, v45, -v178
	v_dual_add_f32 v13, v14, v13 :: v_dual_add_f32 v12, v140, v12
	v_fma_f32 v14, 0x3f6eb680, v55, -v155
	s_delay_alu instid0(VALU_DEP_1) | instskip(NEXT) | instid1(VALU_DEP_1)
	v_dual_fmac_f32 v142, 0xbf59a7d5, v48 :: v_dual_add_f32 v13, v14, v13
	v_add_f32_e32 v12, v142, v12
	s_delay_alu instid0(VALU_DEP_1) | instskip(NEXT) | instid1(VALU_DEP_1)
	v_add_f32_e32 v12, v143, v12
	v_add_f32_e32 v12, v144, v12
	s_delay_alu instid0(VALU_DEP_1) | instskip(SKIP_2) | instid1(VALU_DEP_2)
	v_add_f32_e32 v10, v141, v12
	v_add_f32_e32 v12, v174, v17
	v_fma_f32 v17, 0x3dbcf732, v44, -v176
	v_add_f32_e32 v12, v161, v12
	s_delay_alu instid0(VALU_DEP_2) | instskip(NEXT) | instid1(VALU_DEP_1)
	v_add_f32_e32 v17, v17, v1
	v_add_f32_e32 v14, v18, v17
	v_fma_f32 v17, 0xbe8c1d8e, v47, -v180
	v_fma_f32 v18, 0xbf1a4643, v57, -v160
	s_delay_alu instid0(VALU_DEP_2) | instskip(SKIP_1) | instid1(VALU_DEP_3)
	v_add_f32_e32 v14, v17, v14
	v_fma_f32 v17, 0x3f6eb680, v49, -v171
	v_add_f32_e32 v13, v18, v13
	v_add_f32_e32 v18, v186, v19
	v_fma_f32 v19, 0x3ee437d1, v44, -v189
	s_delay_alu instid0(VALU_DEP_4) | instskip(SKIP_1) | instid1(VALU_DEP_3)
	v_add_f32_e32 v14, v17, v14
	v_fma_f32 v17, 0x3ee437d1, v51, -v187
	v_add_f32_e32 v1, v19, v1
	v_fma_f32 v19, 0xbf1a4643, v55, -v30
	s_delay_alu instid0(VALU_DEP_3) | instskip(SKIP_1) | instid1(VALU_DEP_1)
	v_add_f32_e32 v14, v17, v14
	v_fma_f32 v17, 0xbf59a7d5, v53, -v188
	v_add_f32_e32 v14, v17, v14
	v_fma_f32 v17, 0xbf1a4643, v45, -v103
	s_delay_alu instid0(VALU_DEP_1) | instskip(SKIP_3) | instid1(VALU_DEP_3)
	v_dual_add_f32 v14, v19, v14 :: v_dual_add_f32 v1, v17, v1
	v_fma_f32 v17, 0xbf7ba420, v47, -v117
	v_fmac_f32_e32 v156, 0x3ee437d1, v56
	v_fma_f32 v19, 0x3f3d2fb0, v57, -v31
	v_add_f32_e32 v1, v17, v1
	v_fma_f32 v17, 0xbe8c1d8e, v49, -v133
	v_fmac_f32_e32 v162, 0xbf7ba420, v50
	s_delay_alu instid0(VALU_DEP_2) | instskip(SKIP_1) | instid1(VALU_DEP_1)
	v_dual_add_f32 v10, v156, v10 :: v_dual_add_f32 v1, v17, v1
	v_fma_f32 v17, 0x3f3d2fb0, v51, -v152
	v_dual_add_f32 v12, v162, v12 :: v_dual_add_f32 v1, v17, v1
	v_fma_f32 v17, 0x3f6eb680, v53, -v164
	s_delay_alu instid0(VALU_DEP_1) | instskip(SKIP_1) | instid1(VALU_DEP_2)
	v_dual_fmac_f32 v170, 0x3dbcf732, v52 :: v_dual_add_f32 v1, v17, v1
	v_mul_lo_u16 v17, v95, 17
	v_add_f32_e32 v12, v170, v12
	s_delay_alu instid0(VALU_DEP_3) | instskip(NEXT) | instid1(VALU_DEP_2)
	v_add_f32_e32 v20, v20, v1
	v_dual_add_f32 v12, v163, v12 :: v_dual_and_b32 v17, 0xffff, v17
	v_add_f32_e32 v1, v19, v14
	s_delay_alu instid0(VALU_DEP_2) | instskip(SKIP_3) | instid1(VALU_DEP_2)
	v_add_lshl_u32 v23, v94, v17, 3
	v_add_f32_e32 v17, v175, v22
	v_add_f32_e32 v18, v183, v18
	;; [unrolled: 1-line block ×4, first 2 shown]
	s_delay_alu instid0(VALU_DEP_1) | instskip(NEXT) | instid1(VALU_DEP_1)
	v_add_f32_e32 v18, v181, v18
	v_add_f32_e32 v18, v29, v18
	s_delay_alu instid0(VALU_DEP_1) | instskip(NEXT) | instid1(VALU_DEP_1)
	v_add_f32_e32 v18, v28, v18
	v_add_f32_e32 v0, v78, v18
	;; [unrolled: 1-line block ×3, first 2 shown]
	ds_store_2addr_b64 v23, v[4:5], v[15:16] offset1:1
	ds_store_2addr_b64 v23, v[74:75], v[70:71] offset0:2 offset1:3
	ds_store_2addr_b64 v23, v[2:3], v[40:41] offset0:4 offset1:5
	;; [unrolled: 1-line block ×7, first 2 shown]
	ds_store_b64 v23, v[89:90] offset:128
.LBB0_7:
	s_wait_alu 0xfffe
	s_or_b32 exec_lo, exec_lo, s0
	v_and_b32_e32 v0, 0xff, v95
	v_add_co_u32 v39, null, v95, 51
	v_add_co_u32 v36, null, 0x66, v95
	s_delay_alu instid0(VALU_DEP_3) | instskip(SKIP_1) | instid1(VALU_DEP_3)
	v_mul_lo_u16 v0, 0xf1, v0
	v_add_co_u32 v37, null, 0x99, v95
	v_and_b32_e32 v32, 0xff, v36
	v_add_co_u32 v38, null, 0xcc, v95
	s_delay_alu instid0(VALU_DEP_4)
	v_lshrrev_b16 v55, 12, v0
	v_and_b32_e32 v0, 0xff, v39
	v_and_b32_e32 v2, 0xff, v37
	v_mul_lo_u16 v3, 0xf1, v32
	s_load_b128 s[4:7], s[4:5], 0x0
	v_mul_lo_u16 v1, v55, 17
	v_mul_lo_u16 v0, 0xf1, v0
	global_wb scope:SCOPE_SE
	s_wait_dscnt 0x0
	v_lshrrev_b16 v58, 12, v3
	s_wait_kmcnt 0x0
	s_barrier_signal -1
	v_sub_nc_u16 v57, v95, v1
	v_lshrrev_b16 v56, 12, v0
	v_and_b32_e32 v0, 0xff, v38
	v_mul_lo_u16 v1, 0xf1, v2
	s_barrier_wait -1
	v_lshlrev_b16 v3, 1, v57
	v_mul_lo_u16 v2, v56, 17
	v_mul_lo_u16 v0, 0xf1, v0
	v_lshrrev_b16 v59, 12, v1
	v_mul_lo_u16 v1, v58, 17
	v_and_b32_e32 v3, 0xfe, v3
	v_sub_nc_u16 v2, v39, v2
	v_lshrrev_b16 v63, 12, v0
	v_mul_lo_u16 v0, v59, 17
	v_sub_nc_u16 v1, v36, v1
	global_inv scope:SCOPE_SE
	v_and_b32_e32 v64, 0xff, v2
	v_lshlrev_b32_e32 v2, 3, v3
	v_mul_lo_u16 v3, v63, 17
	v_sub_nc_u16 v0, v37, v0
	v_add_lshl_u32 v97, v94, v95, 3
	v_mul_lo_u16 v68, 0xa1, v32
	global_load_b128 v[16:19], v2, s[2:3]
	v_and_b32_e32 v65, 0xff, v1
	v_lshlrev_b32_e32 v1, 4, v64
	v_sub_nc_u16 v2, v38, v3
	v_and_b32_e32 v66, 0xff, v0
	v_add_nc_u32_e32 v62, 0xc00, v97
	v_lshlrev_b32_e32 v0, 4, v65
	global_load_b128 v[12:15], v1, s[2:3]
	v_add_nc_u32_e32 v60, 0x800, v97
	v_and_b32_e32 v56, 0xffff, v56
	v_mad_u16 v55, v55, 51, v57
	global_load_b128 v[8:11], v0, s[2:3]
	v_and_b32_e32 v67, 0xff, v2
	v_lshlrev_b32_e32 v1, 4, v66
	v_add_nc_u32_e32 v61, 0x1000, v97
	v_lshrrev_b16 v68, 13, v68
	v_mul_u32_u24_e32 v56, 51, v56
	v_lshlrev_b32_e32 v0, 4, v67
	s_clause 0x1
	global_load_b128 v[4:7], v1, s[2:3]
	global_load_b128 v[0:3], v0, s[2:3]
	ds_load_2addr_b64 v[20:23], v97 offset1:51
	ds_load_2addr_b64 v[24:27], v97 offset0:204 offset1:255
	ds_load_2addr_b64 v[28:31], v97 offset0:102 offset1:153
	ds_load_b64 v[53:54], v97 offset:5712
	ds_load_2addr_b64 v[32:35], v62 offset0:126 offset1:177
	ds_load_2addr_b64 v[41:44], v60 offset0:50 offset1:101
	;; [unrolled: 1-line block ×4, first 2 shown]
	v_and_b32_e32 v57, 0xffff, v58
	v_and_b32_e32 v58, 0xffff, v59
	;; [unrolled: 1-line block ×4, first 2 shown]
	v_mul_lo_u16 v63, v68, 51
	global_wb scope:SCOPE_SE
	s_wait_loadcnt_dscnt 0x0
	v_mul_u32_u24_e32 v58, 51, v58
	v_add_lshl_u32 v102, v94, v55, 3
	s_barrier_signal -1
	s_barrier_wait -1
	global_inv scope:SCOPE_SE
	v_lshlrev_b32_e32 v39, 4, v39
	v_lshlrev_b32_e32 v37, 4, v37
	v_dual_mul_f32 v68, v43, v9 :: v_dual_mul_f32 v69, v46, v11
	v_dual_mul_f32 v64, v41, v13 :: v_dual_add_nc_u32 v55, v56, v64
	v_mul_f32_e32 v70, v45, v11
	s_delay_alu instid0(VALU_DEP_3) | instskip(SKIP_4) | instid1(VALU_DEP_4)
	v_fmac_f32_e32 v68, v44, v8
	v_mul_f32_e32 v72, v49, v5
	v_mul_u32_u24_e32 v57, 51, v57
	v_dual_mul_f32 v73, v48, v7 :: v_dual_mul_f32 v76, v51, v1
	v_mul_u32_u24_e32 v59, 51, v59
	v_fmac_f32_e32 v72, v50, v4
	v_fmac_f32_e32 v70, v46, v10
	v_fmac_f32_e32 v64, v42, v12
	v_add_nc_u32_e32 v56, v57, v65
	v_dual_mul_f32 v78, v53, v3 :: v_dual_add_nc_u32 v57, v58, v66
	v_mul_f32_e32 v66, v34, v15
	v_add_nc_u32_e32 v58, v59, v67
	s_delay_alu instid0(VALU_DEP_4) | instskip(NEXT) | instid1(VALU_DEP_4)
	v_add_lshl_u32 v101, v94, v56, 3
	v_add_lshl_u32 v100, v94, v57, 3
	v_dual_mul_f32 v56, v26, v17 :: v_dual_mul_f32 v57, v33, v19
	v_mul_f32_e32 v59, v42, v13
	v_mul_f32_e32 v71, v50, v5
	v_add_lshl_u32 v99, v94, v58, 3
	v_mul_f32_e32 v58, v32, v19
	v_mul_f32_e32 v65, v35, v15
	v_dual_mul_f32 v67, v44, v9 :: v_dual_mul_f32 v74, v47, v7
	v_add_lshl_u32 v103, v94, v55, 3
	v_mul_f32_e32 v55, v27, v17
	v_mul_f32_e32 v75, v52, v1
	v_dual_mul_f32 v77, v54, v3 :: v_dual_fmac_f32 v56, v27, v16
	v_fma_f32 v27, v32, v18, -v57
	v_fma_f32 v32, v41, v12, -v59
	v_fmac_f32_e32 v66, v35, v14
	v_fma_f32 v41, v49, v4, -v71
	v_fma_f32 v42, v47, v6, -v73
	;; [unrolled: 1-line block ×4, first 2 shown]
	v_fmac_f32_e32 v58, v33, v18
	v_fma_f32 v33, v34, v14, -v65
	v_fma_f32 v34, v43, v8, -v67
	;; [unrolled: 1-line block ×4, first 2 shown]
	v_add_f32_e32 v69, v30, v41
	v_add_f32_e32 v65, v29, v68
	;; [unrolled: 1-line block ×6, first 2 shown]
	v_dual_add_f32 v55, v64, v66 :: v_dual_lshlrev_b32 v40, 5, v95
	v_add_f32_e32 v45, v20, v26
	v_dual_fmac_f32 v74, v48, v6 :: v_dual_sub_f32 v83, v43, v44
	v_dual_fmac_f32 v76, v52, v0 :: v_dual_sub_f32 v77, v41, v42
	v_dual_fmac_f32 v78, v54, v2 :: v_dual_add_f32 v79, v24, v43
	s_delay_alu instid0(VALU_DEP_3) | instskip(NEXT) | instid1(VALU_DEP_2)
	v_dual_add_f32 v46, v26, v27 :: v_dual_sub_f32 v73, v72, v74
	v_dual_add_f32 v48, v21, v56 :: v_dual_sub_f32 v81, v76, v78
	v_add_f32_e32 v49, v56, v58
	v_add_f32_e32 v51, v22, v32
	v_dual_add_f32 v54, v23, v64 :: v_dual_fmac_f32 v23, -0.5, v55
	v_add_f32_e32 v52, v32, v33
	v_dual_sub_f32 v47, v56, v58 :: v_dual_sub_f32 v50, v26, v27
	v_sub_f32_e32 v53, v64, v66
	v_sub_f32_e32 v56, v32, v33
	v_add_f32_e32 v72, v72, v74
	v_fma_f32 v20, -0.5, v46, v20
	v_add_f32_e32 v82, v25, v76
	v_fma_f32 v21, -0.5, v49, v21
	v_dual_add_f32 v32, v51, v33 :: v_dual_add_f32 v33, v54, v66
	v_fma_f32 v22, -0.5, v52, v22
	v_add_f32_e32 v76, v76, v78
	v_dual_add_f32 v26, v45, v27 :: v_dual_add_f32 v27, v48, v58
	v_dual_add_f32 v80, v43, v44 :: v_dual_add_f32 v57, v28, v34
	v_fma_f32 v28, -0.5, v59, v28
	v_fma_f32 v29, -0.5, v67, v29
	v_dual_add_f32 v43, v79, v44 :: v_dual_sub_f32 v64, v68, v70
	v_dual_fmac_f32 v31, -0.5, v72 :: v_dual_sub_f32 v68, v34, v35
	v_add_f32_e32 v41, v69, v42
	v_fma_f32 v30, -0.5, v71, v30
	v_fmamk_f32 v45, v47, 0x3f5db3d7, v20
	v_fmac_f32_e32 v20, 0xbf5db3d7, v47
	v_fmamk_f32 v46, v50, 0xbf5db3d7, v21
	v_fmac_f32_e32 v21, 0x3f5db3d7, v50
	v_fma_f32 v24, -0.5, v80, v24
	v_fmamk_f32 v47, v53, 0x3f5db3d7, v22
	v_dual_fmac_f32 v25, -0.5, v76 :: v_dual_add_f32 v34, v57, v35
	v_fmamk_f32 v49, v64, 0x3f5db3d7, v28
	v_dual_add_f32 v35, v65, v70 :: v_dual_fmamk_f32 v48, v56, 0xbf5db3d7, v23
	v_fmac_f32_e32 v22, 0xbf5db3d7, v53
	v_fmac_f32_e32 v23, 0x3f5db3d7, v56
	v_fmamk_f32 v50, v68, 0xbf5db3d7, v29
	v_dual_add_f32 v42, v75, v74 :: v_dual_fmac_f32 v29, 0x3f5db3d7, v68
	v_dual_add_f32 v44, v82, v78 :: v_dual_fmamk_f32 v51, v73, 0x3f5db3d7, v30
	v_fmac_f32_e32 v28, 0xbf5db3d7, v64
	v_fmac_f32_e32 v30, 0xbf5db3d7, v73
	v_fmamk_f32 v52, v77, 0xbf5db3d7, v31
	v_fmac_f32_e32 v31, 0x3f5db3d7, v77
	v_fmamk_f32 v53, v81, 0x3f5db3d7, v24
	;; [unrolled: 2-line block ×3, first 2 shown]
	v_fmac_f32_e32 v25, 0x3f5db3d7, v83
	ds_store_2addr_b64 v102, v[26:27], v[45:46] offset1:17
	ds_store_b64 v102, v[20:21] offset:272
	ds_store_2addr_b64 v103, v[32:33], v[47:48] offset1:17
	ds_store_b64 v103, v[22:23] offset:272
	;; [unrolled: 2-line block ×5, first 2 shown]
	v_sub_nc_u16 v20, v36, v63
	global_wb scope:SCOPE_SE
	s_wait_dscnt 0x0
	s_barrier_signal -1
	s_barrier_wait -1
	global_inv scope:SCOPE_SE
	v_and_b32_e32 v48, 0xff, v20
	s_clause 0x1
	global_load_b128 v[32:35], v40, s[2:3] offset:272
	global_load_b128 v[24:27], v40, s[2:3] offset:288
	v_lshlrev_b32_e32 v63, 4, v95
	v_add_co_u32 v64, s0, s2, v40
	v_lshlrev_b32_e32 v20, 5, v48
	s_clause 0x1
	global_load_b128 v[28:31], v20, s[2:3] offset:272
	global_load_b128 v[20:23], v20, s[2:3] offset:288
	s_wait_alu 0xf1ff
	v_add_co_ci_u32_e64 v65, null, s3, 0, s0
	ds_load_2addr_b64 v[40:43], v97 offset0:102 offset1:153
	ds_load_2addr_b64 v[44:47], v60 offset0:50 offset1:101
	v_add_lshl_u32 v98, v94, v48, 3
	ds_load_2addr_b64 v[48:51], v60 offset0:152 offset1:203
	ds_load_2addr_b64 v[52:55], v61 offset0:100 offset1:151
	;; [unrolled: 1-line block ×3, first 2 shown]
	v_sub_co_u32 v71, s0, v64, v63
	s_wait_alu 0xf1ff
	v_subrev_co_ci_u32_e64 v72, s0, 0, v65, s0
	ds_load_2addr_b64 v[63:66], v62 offset0:126 offset1:177
	ds_load_2addr_b64 v[67:70], v97 offset1:51
	ds_load_b64 v[73:74], v97 offset:5712
	v_add_nc_u32_e32 v75, 0xc00, v98
	v_add_nc_u32_e32 v76, 0x1000, v98
	global_wb scope:SCOPE_SE
	s_wait_loadcnt_dscnt 0x0
	s_barrier_signal -1
	s_barrier_wait -1
	global_inv scope:SCOPE_SE
	v_dual_mul_f32 v77, v43, v33 :: v_dual_lshlrev_b32 v36, 4, v36
	v_dual_mul_f32 v78, v42, v33 :: v_dual_mul_f32 v79, v45, v35
	v_mul_f32_e32 v81, v51, v25
	v_mul_f32_e32 v83, v53, v27
	v_dual_mul_f32 v84, v52, v27 :: v_dual_mul_f32 v85, v57, v33
	v_dual_mul_f32 v86, v56, v33 :: v_dual_mul_f32 v87, v47, v35
	v_mul_f32_e32 v105, v64, v25
	v_mul_f32_e32 v113, v66, v21
	v_dual_mul_f32 v106, v63, v25 :: v_dual_mul_f32 v115, v74, v23
	v_fma_f32 v42, v42, v32, -v77
	v_mul_f32_e32 v82, v50, v25
	v_fma_f32 v50, v50, v24, -v81
	v_fma_f32 v77, v52, v26, -v83
	v_mul_f32_e32 v112, v48, v31
	v_fmac_f32_e32 v78, v43, v32
	v_fma_f32 v43, v44, v34, -v79
	v_mul_f32_e32 v104, v46, v35
	v_mul_f32_e32 v80, v44, v35
	;; [unrolled: 1-line block ×6, first 2 shown]
	v_fma_f32 v44, v56, v32, -v85
	v_dual_fmac_f32 v86, v57, v32 :: v_dual_sub_f32 v83, v43, v50
	v_fma_f32 v46, v46, v34, -v87
	v_fma_f32 v56, v63, v24, -v105
	s_delay_alu instid0(VALU_DEP_3)
	v_dual_fmac_f32 v106, v64, v24 :: v_dual_add_f32 v119, v70, v86
	v_sub_f32_e32 v81, v42, v77
	v_dual_mul_f32 v108, v54, v27 :: v_dual_add_f32 v57, v68, v78
	v_dual_fmac_f32 v84, v53, v26 :: v_dual_add_f32 v53, v42, v77
	v_dual_fmac_f32 v112, v49, v30 :: v_dual_add_f32 v105, v46, v56
	v_add_f32_e32 v49, v43, v50
	v_fmac_f32_e32 v104, v47, v34
	v_mul_f32_e32 v116, v73, v23
	v_fmac_f32_e32 v80, v45, v34
	v_fma_f32 v79, v54, v26, -v107
	v_dual_fmac_f32 v108, v55, v26 :: v_dual_add_f32 v87, v69, v44
	v_fma_f32 v45, v58, v28, -v109
	v_add_f32_e32 v47, v67, v42
	v_dual_fmac_f32 v82, v51, v24 :: v_dual_sub_f32 v109, v104, v106
	v_mul_f32_e32 v110, v58, v29
	v_sub_f32_e32 v51, v42, v43
	v_fmac_f32_e32 v114, v66, v20
	v_fma_f32 v48, v48, v30, -v111
	v_fma_f32 v58, v65, v20, -v113
	v_dual_fmac_f32 v110, v59, v28 :: v_dual_sub_f32 v111, v44, v46
	v_fma_f32 v73, v73, v22, -v115
	v_dual_sub_f32 v52, v77, v50 :: v_dual_sub_f32 v117, v46, v44
	v_sub_f32_e32 v55, v50, v77
	v_dual_fmac_f32 v116, v74, v22 :: v_dual_sub_f32 v113, v79, v56
	v_add_f32_e32 v65, v78, v84
	v_add_f32_e32 v59, v80, v82
	v_sub_f32_e32 v63, v78, v80
	v_dual_sub_f32 v66, v78, v84 :: v_dual_sub_f32 v121, v44, v79
	v_dual_sub_f32 v78, v80, v78 :: v_dual_sub_f32 v129, v110, v116
	;; [unrolled: 1-line block ×3, first 2 shown]
	v_sub_f32_e32 v123, v86, v104
	v_add_f32_e32 v115, v44, v79
	v_dual_add_f32 v120, v104, v106 :: v_dual_add_f32 v133, v45, v73
	v_dual_sub_f32 v122, v46, v56 :: v_dual_add_f32 v127, v40, v45
	v_dual_sub_f32 v126, v106, v108 :: v_dual_add_f32 v137, v112, v114
	v_dual_sub_f32 v74, v80, v82 :: v_dual_sub_f32 v107, v86, v108
	v_dual_sub_f32 v64, v84, v82 :: v_dual_add_f32 v125, v86, v108
	v_dual_sub_f32 v118, v56, v79 :: v_dual_sub_f32 v131, v45, v48
	v_dual_sub_f32 v86, v104, v86 :: v_dual_sub_f32 v143, v114, v116
	v_dual_add_f32 v128, v48, v58 :: v_dual_add_f32 v145, v51, v52
	v_dual_sub_f32 v130, v112, v114 :: v_dual_add_f32 v51, v57, v80
	v_sub_f32_e32 v132, v73, v58
	v_sub_f32_e32 v134, v48, v45
	v_add_f32_e32 v136, v41, v110
	v_dual_sub_f32 v138, v45, v73 :: v_dual_sub_f32 v139, v48, v58
	v_dual_sub_f32 v140, v110, v112 :: v_dual_sub_f32 v141, v116, v114
	v_add_f32_e32 v144, v47, v43
	v_add_f32_e32 v142, v110, v116
	v_sub_f32_e32 v110, v112, v110
	v_fma_f32 v42, -0.5, v49, v67
	v_fma_f32 v44, -0.5, v53, v67
	;; [unrolled: 1-line block ×3, first 2 shown]
	v_add_f32_e32 v59, v127, v48
	v_fma_f32 v45, -0.5, v65, v68
	v_dual_add_f32 v78, v78, v85 :: v_dual_add_f32 v67, v51, v82
	v_dual_add_f32 v85, v111, v113 :: v_dual_add_f32 v146, v54, v55
	v_dual_add_f32 v54, v87, v46 :: v_dual_fmamk_f32 v51, v81, 0xbf737871, v43
	v_fma_f32 v46, -0.5, v105, v69
	v_fma_f32 v69, -0.5, v115, v69
	v_add_f32_e32 v55, v119, v104
	v_fma_f32 v47, -0.5, v120, v70
	v_fma_f32 v49, -0.5, v137, v41
	v_dual_sub_f32 v124, v108, v106 :: v_dual_sub_f32 v135, v58, v73
	v_dual_add_f32 v87, v117, v118 :: v_dual_add_f32 v80, v63, v64
	v_dual_fmac_f32 v70, -0.5, v125 :: v_dual_fmamk_f32 v53, v83, 0x3f737871, v45
	v_fma_f32 v48, -0.5, v128, v40
	v_fma_f32 v40, -0.5, v133, v40
	v_add_f32_e32 v64, v136, v112
	v_add_f32_e32 v112, v140, v141
	v_dual_add_f32 v110, v110, v143 :: v_dual_add_f32 v65, v144, v50
	v_dual_fmac_f32 v41, -0.5, v142 :: v_dual_fmamk_f32 v52, v74, 0xbf737871, v44
	v_fmac_f32_e32 v44, 0x3f737871, v74
	v_add_f32_e32 v68, v54, v56
	v_dual_fmamk_f32 v56, v109, 0xbf737871, v69 :: v_dual_fmamk_f32 v63, v130, 0xbf737871, v40
	v_dual_fmac_f32 v69, 0x3f737871, v109 :: v_dual_fmamk_f32 v50, v66, 0x3f737871, v42
	v_add_f32_e32 v113, v64, v114
	v_fmac_f32_e32 v42, 0xbf737871, v66
	v_dual_add_f32 v82, v55, v106 :: v_dual_fmamk_f32 v57, v122, 0x3f737871, v70
	v_fmamk_f32 v55, v121, 0xbf737871, v47
	v_dual_fmac_f32 v47, 0x3f737871, v121 :: v_dual_add_f32 v106, v59, v58
	v_fmac_f32_e32 v51, 0xbf167918, v83
	v_fmamk_f32 v59, v138, 0xbf737871, v49
	v_dual_fmac_f32 v49, 0x3f737871, v138 :: v_dual_fmamk_f32 v54, v107, 0x3f737871, v46
	v_dual_add_f32 v104, v123, v124 :: v_dual_fmac_f32 v43, 0x3f737871, v81
	v_dual_add_f32 v86, v86, v126 :: v_dual_fmac_f32 v45, 0xbf737871, v83
	v_fmamk_f32 v64, v139, 0x3f737871, v41
	v_fmac_f32_e32 v41, 0xbf737871, v139
	v_dual_add_f32 v65, v65, v77 :: v_dual_fmac_f32 v52, 0x3f167918, v66
	s_delay_alu instid0(VALU_DEP_4)
	v_fmac_f32_e32 v45, 0x3f167918, v81
	v_dual_fmac_f32 v44, 0xbf167918, v66 :: v_dual_fmac_f32 v69, 0xbf167918, v107
	v_dual_add_f32 v66, v67, v84 :: v_dual_fmac_f32 v55, 0xbf167918, v122
	v_dual_add_f32 v67, v68, v79 :: v_dual_fmac_f32 v54, 0x3f167918, v109
	v_dual_fmac_f32 v47, 0x3f167918, v122 :: v_dual_fmac_f32 v56, 0x3f167918, v107
	v_fmac_f32_e32 v63, 0x3f167918, v129
	v_dual_add_f32 v105, v131, v132 :: v_dual_fmac_f32 v46, 0xbf737871, v107
	v_dual_add_f32 v73, v106, v73 :: v_dual_fmac_f32 v70, 0xbf737871, v122
	v_fmac_f32_e32 v40, 0x3f737871, v130
	v_dual_fmac_f32 v44, 0x3e9e377a, v146 :: v_dual_fmac_f32 v55, 0x3e9e377a, v104
	v_dual_fmac_f32 v56, 0x3e9e377a, v87 :: v_dual_fmac_f32 v47, 0x3e9e377a, v104
	v_lshlrev_b32_e32 v104, 3, v95
	v_fmamk_f32 v58, v129, 0x3f737871, v48
	v_fmac_f32_e32 v48, 0xbf737871, v129
	v_dual_fmac_f32 v50, 0x3f167918, v74 :: v_dual_fmac_f32 v43, 0x3f167918, v83
	v_dual_fmac_f32 v42, 0xbf167918, v74 :: v_dual_fmac_f32 v53, 0xbf167918, v81
	v_dual_add_f32 v74, v113, v116 :: v_dual_fmac_f32 v41, 0x3f167918, v138
	v_dual_add_f32 v68, v82, v108 :: v_dual_fmac_f32 v57, 0xbf167918, v121
	;; [unrolled: 1-line block ×3, first 2 shown]
	v_fmac_f32_e32 v59, 0xbf167918, v139
	v_dual_fmac_f32 v70, 0x3f167918, v121 :: v_dual_fmac_f32 v49, 0x3f167918, v139
	v_fmac_f32_e32 v48, 0xbf167918, v130
	v_fmac_f32_e32 v40, 0xbf167918, v129
	;; [unrolled: 1-line block ×3, first 2 shown]
	v_dual_fmac_f32 v50, 0x3e9e377a, v145 :: v_dual_fmac_f32 v51, 0x3e9e377a, v80
	v_fmac_f32_e32 v41, 0x3e9e377a, v110
	v_dual_fmac_f32 v58, 0x3f167918, v130 :: v_dual_add_nc_u32 v107, v104, v96
	v_dual_fmac_f32 v52, 0x3e9e377a, v146 :: v_dual_fmac_f32 v69, 0x3e9e377a, v87
	v_dual_fmac_f32 v53, 0x3e9e377a, v78 :: v_dual_fmac_f32 v54, 0x3e9e377a, v85
	;; [unrolled: 1-line block ×8, first 2 shown]
	v_fmac_f32_e32 v64, 0x3e9e377a, v110
	ds_store_2addr_b64 v97, v[65:66], v[50:51] offset1:51
	ds_store_2addr_b64 v97, v[52:53], v[44:45] offset0:102 offset1:153
	ds_store_2addr_b64 v97, v[42:43], v[67:68] offset0:204 offset1:255
	;; [unrolled: 1-line block ×6, first 2 shown]
	ds_store_b64 v98, v[48:49] offset:5712
	global_wb scope:SCOPE_SE
	s_wait_dscnt 0x0
	s_barrier_signal -1
	s_barrier_wait -1
	global_inv scope:SCOPE_SE
	s_clause 0x1
	global_load_b128 v[48:51], v39, s[2:3] offset:1904
	global_load_b128 v[44:47], v36, s[2:3] offset:1904
	v_lshlrev_b32_e32 v36, 4, v38
	s_clause 0x2
	global_load_b128 v[52:55], v[71:72], off offset:1904
	global_load_b128 v[40:43], v37, s[2:3] offset:1904
	global_load_b128 v[36:39], v36, s[2:3] offset:1904
	ds_load_2addr_b64 v[56:59], v97 offset0:204 offset1:255
	ds_load_2addr_b64 v[62:65], v62 offset0:126 offset1:177
	;; [unrolled: 1-line block ×5, first 2 shown]
	ds_load_2addr_b64 v[72:75], v97 offset1:51
	ds_load_b64 v[60:61], v97 offset:5712
	ds_load_2addr_b64 v[76:79], v97 offset0:102 offset1:153
	v_lshl_add_u32 v105, v95, 3, v96
	s_delay_alu instid0(VALU_DEP_1)
	v_add_nc_u32_e32 v106, 0x400, v105
	s_wait_loadcnt_dscnt 0x405
	v_mul_f32_e32 v112, v66, v49
	v_dual_mul_f32 v114, v64, v51 :: v_dual_mul_f32 v111, v67, v49
	s_wait_loadcnt 0x2
	v_mul_f32_e32 v71, v58, v53
	v_mul_f32_e32 v109, v63, v55
	s_wait_loadcnt_dscnt 0x103
	v_mul_f32_e32 v119, v85, v41
	v_mul_f32_e32 v121, v83, v43
	;; [unrolled: 1-line block ×3, first 2 shown]
	v_dual_mul_f32 v117, v81, v47 :: v_dual_fmac_f32 v112, v67, v48
	v_fmac_f32_e32 v114, v65, v50
	v_mul_f32_e32 v110, v62, v55
	v_mul_f32_e32 v122, v82, v43
	v_fma_f32 v65, v84, v40, -v119
	v_fma_f32 v67, v82, v42, -v121
	v_mul_f32_e32 v120, v84, v41
	v_mul_f32_e32 v115, v69, v45
	s_wait_loadcnt 0x0
	v_mul_f32_e32 v123, v87, v37
	s_wait_dscnt 0x1
	v_mul_f32_e32 v125, v61, v39
	v_fmac_f32_e32 v71, v59, v52
	v_mul_f32_e32 v70, v59, v53
	v_fma_f32 v59, v62, v54, -v109
	v_fma_f32 v62, v66, v48, -v111
	;; [unrolled: 1-line block ×3, first 2 shown]
	v_add_f32_e32 v117, v65, v67
	v_fmac_f32_e32 v120, v85, v40
	v_mul_f32_e32 v118, v80, v47
	v_add_f32_e32 v85, v112, v114
	v_fmac_f32_e32 v122, v83, v42
	v_sub_f32_e32 v83, v112, v114
	v_fmac_f32_e32 v110, v63, v54
	v_fma_f32 v63, v64, v50, -v113
	v_mul_f32_e32 v116, v68, v45
	v_fma_f32 v64, v68, v44, -v115
	v_mul_f32_e32 v124, v86, v37
	v_fma_f32 v68, v86, v36, -v123
	v_fma_f32 v80, v60, v38, -v125
	s_wait_dscnt 0x0
	v_add_f32_e32 v121, v79, v120
	v_add_f32_e32 v109, v64, v66
	v_dual_fmac_f32 v118, v81, v46 :: v_dual_add_f32 v81, v62, v63
	v_add_f32_e32 v127, v68, v80
	v_dual_fmac_f32 v116, v69, v44 :: v_dual_sub_f32 v115, v64, v66
	v_add_f32_e32 v69, v73, v71
	v_fma_f32 v58, v58, v52, -v70
	s_delay_alu instid0(VALU_DEP_3)
	v_dual_sub_f32 v111, v116, v118 :: v_dual_add_nc_u32 v108, 0xc00, v105
	v_dual_add_f32 v84, v75, v112 :: v_dual_add_f32 v113, v116, v118
	v_dual_fmac_f32 v75, -0.5, v85 :: v_dual_fmac_f32 v124, v87, v36
	v_sub_f32_e32 v119, v120, v122
	v_mul_f32_e32 v126, v60, v39
	v_dual_add_f32 v120, v120, v122 :: v_dual_sub_f32 v123, v65, v67
	s_delay_alu instid0(VALU_DEP_4) | instskip(NEXT) | instid1(VALU_DEP_3)
	v_add_f32_e32 v129, v57, v124
	v_dual_add_f32 v125, v56, v68 :: v_dual_fmac_f32 v126, v61, v38
	s_delay_alu instid0(VALU_DEP_3)
	v_fmac_f32_e32 v79, -0.5, v120
	v_add_f32_e32 v61, v58, v59
	v_add_f32_e32 v87, v76, v64
	v_sub_f32_e32 v130, v68, v80
	v_sub_f32_e32 v128, v124, v126
	v_add_f32_e32 v124, v124, v126
	v_add_f32_e32 v60, v72, v58
	v_sub_f32_e32 v58, v58, v59
	v_add_f32_e32 v112, v77, v116
	v_dual_add_f32 v116, v78, v65 :: v_dual_add_f32 v65, v69, v110
	v_fma_f32 v68, -0.5, v109, v76
	v_fma_f32 v69, -0.5, v113, v77
	s_delay_alu instid0(VALU_DEP_4)
	v_dual_add_f32 v85, v112, v118 :: v_dual_sub_f32 v86, v62, v63
	v_add_f32_e32 v70, v71, v110
	v_fma_f32 v78, -0.5, v117, v78
	v_fma_f32 v56, -0.5, v127, v56
	v_fmamk_f32 v77, v123, 0xbf5db3d7, v79
	v_dual_fmac_f32 v57, -0.5, v124 :: v_dual_add_f32 v64, v60, v59
	v_fma_f32 v60, -0.5, v61, v72
	v_fma_f32 v61, -0.5, v70, v73
	v_sub_f32_e32 v82, v71, v110
	v_add_f32_e32 v71, v74, v62
	v_fma_f32 v74, -0.5, v81, v74
	v_add_f32_e32 v80, v125, v80
	v_dual_add_f32 v81, v129, v126 :: v_dual_fmamk_f32 v76, v119, 0x3f5db3d7, v78
	s_delay_alu instid0(VALU_DEP_4)
	v_dual_add_f32 v62, v71, v63 :: v_dual_add_f32 v63, v84, v114
	v_dual_add_f32 v84, v87, v66 :: v_dual_fmac_f32 v79, 0x3f5db3d7, v123
	v_dual_add_f32 v71, v121, v122 :: v_dual_add_f32 v70, v116, v67
	v_fmamk_f32 v67, v58, 0xbf5db3d7, v61
	v_fmamk_f32 v66, v82, 0x3f5db3d7, v60
	v_fmac_f32_e32 v60, 0xbf5db3d7, v82
	v_dual_fmac_f32 v61, 0x3f5db3d7, v58 :: v_dual_fmamk_f32 v72, v83, 0x3f5db3d7, v74
	v_dual_fmac_f32 v74, 0xbf5db3d7, v83 :: v_dual_fmamk_f32 v73, v86, 0xbf5db3d7, v75
	;; [unrolled: 1-line block ×4, first 2 shown]
	v_fmac_f32_e32 v69, 0x3f5db3d7, v115
	v_fmac_f32_e32 v78, 0xbf5db3d7, v119
	v_fmamk_f32 v82, v128, 0x3f5db3d7, v56
	v_dual_fmac_f32 v56, 0xbf5db3d7, v128 :: v_dual_fmamk_f32 v83, v130, 0xbf5db3d7, v57
	v_fmac_f32_e32 v57, 0x3f5db3d7, v130
	ds_store_2addr_b64 v105, v[64:65], v[62:63] offset1:51
	ds_store_b64 v105, v[84:85] offset:816
	ds_store_2addr_b64 v106, v[66:67], v[72:73] offset0:127 offset1:178
	ds_store_2addr_b64 v108, v[60:61], v[74:75] offset0:126 offset1:177
	ds_store_b64 v107, v[86:87] offset:2856
	ds_store_b64 v107, v[68:69] offset:4896
	;; [unrolled: 1-line block ×8, first 2 shown]
	global_wb scope:SCOPE_SE
	s_wait_dscnt 0x0
	s_barrier_signal -1
	s_barrier_wait -1
	global_inv scope:SCOPE_SE
	s_and_saveexec_b32 s2, vcc_lo
	s_cbranch_execz .LBB0_9
; %bb.8:
	s_add_nc_u64 s[0:1], s[8:9], 0x17e8
	s_clause 0x10
	global_load_b64 v[58:59], v93, s[8:9] offset:6120
	global_load_b64 v[140:141], v93, s[0:1] offset:360
	global_load_b64 v[142:143], v93, s[0:1] offset:720
	global_load_b64 v[144:145], v93, s[0:1] offset:1080
	global_load_b64 v[146:147], v93, s[0:1] offset:1440
	global_load_b64 v[148:149], v93, s[0:1] offset:1800
	global_load_b64 v[150:151], v93, s[0:1] offset:2160
	global_load_b64 v[152:153], v93, s[0:1] offset:2520
	global_load_b64 v[154:155], v93, s[0:1] offset:2880
	global_load_b64 v[156:157], v93, s[0:1] offset:3240
	global_load_b64 v[158:159], v93, s[0:1] offset:3600
	global_load_b64 v[160:161], v93, s[0:1] offset:3960
	global_load_b64 v[162:163], v93, s[0:1] offset:4320
	global_load_b64 v[164:165], v93, s[0:1] offset:4680
	global_load_b64 v[166:167], v93, s[0:1] offset:5040
	global_load_b64 v[168:169], v93, s[0:1] offset:5400
	global_load_b64 v[170:171], v93, s[0:1] offset:5760
	ds_load_2addr_b64 v[108:111], v105 offset1:45
	ds_load_2addr_b64 v[112:115], v105 offset0:90 offset1:135
	v_add_nc_u32_e32 v106, 0x800, v105
	s_wait_loadcnt_dscnt 0x1001
	v_dual_mul_f32 v175, v108, v59 :: v_dual_add_nc_u32 v176, 0x1000, v105
	ds_load_2addr_b64 v[116:119], v105 offset0:180 offset1:225
	ds_load_2addr_b64 v[120:123], v106 offset0:14 offset1:59
	s_wait_loadcnt 0xf
	v_dual_mul_f32 v174, v109, v59 :: v_dual_mul_f32 v177, v111, v141
	s_wait_loadcnt_dscnt 0xe02
	v_dual_mul_f32 v59, v110, v141 :: v_dual_mul_f32 v178, v113, v143
	v_mul_f32_e32 v141, v112, v143
	ds_load_b64 v[172:173], v105 offset:5760
	ds_load_2addr_b64 v[124:127], v106 offset0:104 offset1:149
	ds_load_2addr_b64 v[128:131], v106 offset0:194 offset1:239
	;; [unrolled: 1-line block ×4, first 2 shown]
	s_wait_loadcnt 0xd
	v_mul_f32_e32 v179, v115, v145
	v_mul_f32_e32 v143, v114, v145
	v_fma_f32 v174, v108, v58, -v174
	v_fmac_f32_e32 v175, v109, v58
	v_fma_f32 v58, v110, v140, -v177
	v_fmac_f32_e32 v59, v111, v140
	;; [unrolled: 2-line block ×3, first 2 shown]
	s_wait_loadcnt_dscnt 0xc06
	v_mul_f32_e32 v180, v117, v147
	s_wait_loadcnt_dscnt 0xa05
	v_mul_f32_e32 v182, v121, v151
	v_mul_f32_e32 v145, v116, v147
	s_wait_loadcnt_dscnt 0x803
	v_dual_mul_f32 v181, v119, v149 :: v_dual_mul_f32 v184, v125, v155
	s_wait_loadcnt_dscnt 0x602
	v_dual_mul_f32 v147, v118, v149 :: v_dual_mul_f32 v186, v129, v159
	v_mul_f32_e32 v149, v120, v151
	s_wait_loadcnt_dscnt 0x401
	v_dual_mul_f32 v183, v123, v153 :: v_dual_mul_f32 v188, v133, v163
	s_wait_loadcnt_dscnt 0x200
	v_dual_mul_f32 v151, v122, v153 :: v_dual_mul_f32 v190, v137, v167
	v_mul_f32_e32 v153, v124, v155
	s_wait_loadcnt 0x0
	v_dual_mul_f32 v185, v127, v157 :: v_dual_mul_f32 v192, v173, v171
	v_mul_f32_e32 v155, v126, v157
	v_mul_f32_e32 v157, v128, v159
	;; [unrolled: 1-line block ×11, first 2 shown]
	v_fma_f32 v142, v114, v144, -v179
	v_fmac_f32_e32 v143, v115, v144
	v_fma_f32 v144, v116, v146, -v180
	v_fmac_f32_e32 v145, v117, v146
	;; [unrolled: 2-line block ×14, first 2 shown]
	ds_store_2addr_b64 v105, v[174:175], v[58:59] offset1:45
	ds_store_2addr_b64 v105, v[140:141], v[142:143] offset0:90 offset1:135
	ds_store_2addr_b64 v105, v[144:145], v[146:147] offset0:180 offset1:225
	;; [unrolled: 1-line block ×7, first 2 shown]
	ds_store_b64 v105, v[168:169] offset:5760
.LBB0_9:
	s_wait_alu 0xfffe
	s_or_b32 exec_lo, exec_lo, s2
	global_wb scope:SCOPE_SE
	s_wait_dscnt 0x0
	s_barrier_signal -1
	s_barrier_wait -1
	global_inv scope:SCOPE_SE
	s_and_saveexec_b32 s0, vcc_lo
	s_cbranch_execz .LBB0_11
; %bb.10:
	v_add_nc_u32_e32 v80, 0x1000, v105
	ds_load_2addr_b64 v[64:67], v105 offset1:45
	v_add_nc_u32_e32 v76, 0x800, v105
	ds_load_2addr_b64 v[60:63], v105 offset0:90 offset1:135
	ds_load_2addr_b64 v[56:59], v80 offset0:118 offset1:163
	;; [unrolled: 1-line block ×3, first 2 shown]
	ds_load_b64 v[89:90], v105 offset:5760
	ds_load_2addr_b64 v[84:87], v76 offset0:14 offset1:59
	ds_load_2addr_b64 v[68:71], v76 offset0:104 offset1:149
	;; [unrolled: 1-line block ×4, first 2 shown]
	s_wait_dscnt 0x6
	v_dual_mov_b32 v91, v58 :: v_dual_mov_b32 v92, v59
.LBB0_11:
	s_wait_alu 0xfffe
	s_or_b32 exec_lo, exec_lo, s0
	v_add_nc_u32_e32 v106, 0x330, v107
	v_add_nc_u32_e32 v59, 0x4c8, v107
	;; [unrolled: 1-line block ×3, first 2 shown]
	global_wb scope:SCOPE_SE
	s_wait_dscnt 0x0
	s_barrier_signal -1
	s_barrier_wait -1
	global_inv scope:SCOPE_SE
	s_and_saveexec_b32 s0, vcc_lo
	s_cbranch_execz .LBB0_13
; %bb.12:
	v_dual_add_f32 v107, v67, v65 :: v_dual_add_f32 v108, v66, v64
	v_dual_add_f32 v111, v79, v85 :: v_dual_add_f32 v110, v77, v87
	v_sub_f32_e32 v109, v85, v79
	s_delay_alu instid0(VALU_DEP_3) | instskip(SKIP_1) | instid1(VALU_DEP_2)
	v_dual_add_f32 v107, v61, v107 :: v_dual_add_f32 v108, v60, v108
	v_sub_f32_e32 v151, v69, v71
	v_dual_add_f32 v107, v63, v107 :: v_dual_add_f32 v108, v62, v108
	s_delay_alu instid0(VALU_DEP_2) | instskip(SKIP_2) | instid1(VALU_DEP_4)
	v_mul_f32_e32 v164, 0xbf06c442, v151
	v_mul_f32_e32 v188, 0xbf4c4adb, v151
	;; [unrolled: 1-line block ×3, first 2 shown]
	v_dual_add_f32 v107, v73, v107 :: v_dual_add_f32 v108, v72, v108
	s_delay_alu instid0(VALU_DEP_1) | instskip(NEXT) | instid1(VALU_DEP_1)
	v_dual_add_f32 v107, v75, v107 :: v_dual_add_f32 v108, v74, v108
	v_dual_add_f32 v107, v85, v107 :: v_dual_add_f32 v108, v84, v108
	s_delay_alu instid0(VALU_DEP_1) | instskip(SKIP_3) | instid1(VALU_DEP_4)
	v_dual_add_f32 v112, v87, v107 :: v_dual_add_f32 v113, v86, v108
	v_dual_sub_f32 v108, v84, v78 :: v_dual_sub_f32 v107, v86, v76
	v_add_f32_e32 v85, v78, v84
	v_dual_sub_f32 v87, v87, v77 :: v_dual_add_f32 v84, v76, v86
	v_add_f32_e32 v86, v69, v112
	v_add_f32_e32 v112, v68, v113
	v_mul_f32_e32 v161, 0xbeb8f4ab, v109
	v_mul_f32_e32 v156, 0x3f6eb680, v111
	;; [unrolled: 1-line block ×4, first 2 shown]
	v_dual_add_f32 v112, v70, v112 :: v_dual_mul_f32 v197, 0xbf06c442, v109
	v_mul_f32_e32 v209, 0xbe3c28d5, v109
	v_mul_f32_e32 v216, 0x3f3d2fb0, v111
	;; [unrolled: 1-line block ×3, first 2 shown]
	s_delay_alu instid0(VALU_DEP_4) | instskip(SKIP_3) | instid1(VALU_DEP_4)
	v_add_f32_e32 v76, v76, v112
	v_add_f32_e32 v86, v71, v86
	v_mul_f32_e32 v180, 0x3dbcf732, v111
	v_mul_f32_e32 v192, 0xbf59a7d5, v111
	v_dual_mul_f32 v204, 0xbf7ba420, v111 :: v_dual_add_f32 v113, v78, v76
	s_delay_alu instid0(VALU_DEP_4) | instskip(SKIP_2) | instid1(VALU_DEP_3)
	v_dual_add_f32 v77, v77, v86 :: v_dual_add_f32 v86, v83, v73
	v_sub_f32_e32 v76, v74, v80
	v_dual_sub_f32 v78, v73, v83 :: v_dual_add_f32 v73, v82, v72
	v_dual_add_f32 v112, v79, v77 :: v_dual_sub_f32 v77, v72, v82
	v_dual_add_f32 v72, v80, v74 :: v_dual_add_f32 v79, v81, v75
	s_delay_alu instid0(VALU_DEP_2) | instskip(SKIP_2) | instid1(VALU_DEP_4)
	v_dual_sub_f32 v75, v75, v81 :: v_dual_add_f32 v74, v81, v112
	v_add_f32_e32 v150, v71, v69
	v_mul_f32_e32 v154, 0xbe8c1d8e, v86
	v_mul_f32_e32 v155, 0x3f3d2fb0, v79
	;; [unrolled: 1-line block ×3, first 2 shown]
	v_dual_add_f32 v81, v83, v74 :: v_dual_add_f32 v74, v90, v67
	v_dual_add_f32 v80, v80, v113 :: v_dual_sub_f32 v67, v67, v90
	v_mul_f32_e32 v159, 0x3f763a35, v78
	s_delay_alu instid0(VALU_DEP_3) | instskip(NEXT) | instid1(VALU_DEP_3)
	v_add_f32_e32 v81, v57, v81
	v_dual_mul_f32 v83, 0xbf59a7d5, v74 :: v_dual_add_f32 v82, v82, v80
	v_mul_f32_e32 v113, 0xbe8c1d8e, v74
	v_mul_f32_e32 v80, 0xbf7ba420, v74
	v_mul_f32_e32 v112, 0xbf1a4643, v74
	v_mul_f32_e32 v114, 0x3dbcf732, v74
	v_mul_f32_e32 v119, 0x3ee437d1, v74
	v_mul_f32_e32 v120, 0x3f3d2fb0, v74
	v_dual_mul_f32 v121, 0x3f6eb680, v74 :: v_dual_sub_f32 v74, v66, v89
	v_mul_f32_e32 v130, 0xbf65296c, v67
	v_add_f32_e32 v66, v89, v66
	v_mul_f32_e32 v126, 0xbf06c442, v67
	v_mul_f32_e32 v128, 0xbf763a35, v67
	v_fmamk_f32 v123, v74, 0x3f65296c, v119
	v_fmac_f32_e32 v119, 0xbf65296c, v74
	v_fmamk_f32 v118, v74, 0x3f763a35, v113
	v_fmamk_f32 v116, v74, 0x3f06c442, v83
	v_fmac_f32_e32 v83, 0xbf06c442, v74
	v_fmamk_f32 v137, v66, 0x3ee437d1, v130
	v_fmamk_f32 v133, v66, 0xbf59a7d5, v126
	v_fmac_f32_e32 v113, 0xbf763a35, v74
	v_mul_f32_e32 v129, 0xbf7ee86f, v67
	v_mul_f32_e32 v131, 0xbf2c7751, v67
	v_dual_add_f32 v137, v64, v137 :: v_dual_fmamk_f32 v124, v74, 0x3f2c7751, v120
	v_dual_add_f32 v147, v65, v83 :: v_dual_fmac_f32 v120, 0xbf2c7751, v74
	v_add_f32_e32 v133, v64, v133
	v_fmamk_f32 v115, v74, 0x3e3c28d5, v80
	s_delay_alu instid0(VALU_DEP_4)
	v_dual_fmac_f32 v80, 0xbe3c28d5, v74 :: v_dual_add_f32 v145, v65, v124
	v_dual_add_f32 v123, v65, v123 :: v_dual_fmamk_f32 v122, v74, 0x3f7ee86f, v114
	v_fmac_f32_e32 v114, 0xbf7ee86f, v74
	v_fmamk_f32 v136, v66, 0x3dbcf732, v129
	v_fma_f32 v129, 0x3dbcf732, v66, -v129
	v_fma_f32 v130, 0x3ee437d1, v66, -v130
	v_fmamk_f32 v138, v66, 0x3f3d2fb0, v131
	v_fmamk_f32 v135, v66, 0xbe8c1d8e, v128
	v_mul_f32_e32 v127, 0xbf4c4adb, v67
	v_dual_add_f32 v140, v65, v115 :: v_dual_add_f32 v115, v64, v129
	s_delay_alu instid0(VALU_DEP_4) | instskip(NEXT) | instid1(VALU_DEP_4)
	v_add_f32_e32 v138, v64, v138
	v_add_f32_e32 v135, v64, v135
	v_fmamk_f32 v117, v74, 0x3f4c4adb, v112
	v_fmac_f32_e32 v112, 0xbf4c4adb, v74
	v_fmamk_f32 v125, v74, 0x3eb8f4ab, v121
	v_dual_fmac_f32 v121, 0xbeb8f4ab, v74 :: v_dual_add_f32 v136, v64, v136
	s_delay_alu instid0(VALU_DEP_3) | instskip(SKIP_3) | instid1(VALU_DEP_4)
	v_dual_mul_f32 v74, 0xbe3c28d5, v67 :: v_dual_add_f32 v149, v65, v112
	v_fma_f32 v128, 0xbe8c1d8e, v66, -v128
	v_fmamk_f32 v134, v66, 0xbf1a4643, v127
	v_fma_f32 v127, 0xbf1a4643, v66, -v127
	v_fmamk_f32 v132, v66, 0xbf7ba420, v74
	v_fma_f32 v74, 0xbf7ba420, v66, -v74
	v_fma_f32 v131, 0x3f3d2fb0, v66, -v131
	;; [unrolled: 1-line block ×3, first 2 shown]
	v_add_f32_e32 v127, v64, v127
	v_add_f32_e32 v132, v64, v132
	v_dual_add_f32 v142, v65, v117 :: v_dual_add_f32 v117, v64, v128
	v_dual_mul_f32 v67, 0xbeb8f4ab, v67 :: v_dual_add_f32 v134, v64, v134
	v_add_f32_e32 v146, v64, v74
	v_add_f32_e32 v74, v64, v131
	s_delay_alu instid0(VALU_DEP_3)
	v_dual_add_f32 v144, v65, v122 :: v_dual_fmamk_f32 v139, v66, 0x3f6eb680, v67
	v_fma_f32 v66, 0x3f6eb680, v66, -v67
	v_add_f32_e32 v67, v65, v125
	v_add_f32_e32 v143, v65, v118
	v_dual_add_f32 v118, v65, v113 :: v_dual_add_f32 v113, v64, v130
	v_dual_add_f32 v130, v92, v61 :: v_dual_add_f32 v141, v65, v116
	;; [unrolled: 1-line block ×3, first 2 shown]
	v_add_f32_e32 v148, v64, v126
	v_dual_add_f32 v116, v65, v114 :: v_dual_sub_f32 v129, v63, v57
	v_add_f32_e32 v80, v65, v120
	v_dual_add_f32 v64, v64, v66 :: v_dual_sub_f32 v131, v61, v92
	v_add_f32_e32 v82, v56, v82
	v_dual_add_f32 v128, v57, v63 :: v_dual_mul_f32 v71, 0x3f3d2fb0, v130
	v_sub_f32_e32 v63, v60, v91
	v_dual_add_f32 v61, v92, v81 :: v_dual_sub_f32 v66, v62, v56
	v_dual_add_f32 v114, v65, v119 :: v_dual_add_f32 v57, v70, v68
	v_add_f32_e32 v62, v56, v62
	s_delay_alu instid0(VALU_DEP_3) | instskip(SKIP_3) | instid1(VALU_DEP_4)
	v_dual_add_f32 v120, v90, v61 :: v_dual_fmamk_f32 v61, v63, 0x3f2c7751, v71
	v_mul_f32_e32 v92, 0xbf7ee86f, v78
	v_dual_mul_f32 v90, 0xbf763a35, v75 :: v_dual_add_f32 v65, v65, v121
	v_mul_f32_e32 v153, 0xbf7ba420, v128
	v_dual_add_f32 v61, v61, v67 :: v_dual_sub_f32 v56, v68, v70
	v_add_f32_e32 v68, v91, v82
	v_mul_f32_e32 v70, 0x3ee437d1, v128
	v_add_f32_e32 v60, v91, v60
	v_mul_f32_e32 v152, 0xbf1a4643, v130
	v_mul_f32_e32 v157, 0xbf4c4adb, v131
	v_add_f32_e32 v119, v89, v68
	v_fmamk_f32 v67, v66, 0x3f65296c, v70
	v_mul_f32_e32 v68, 0x3dbcf732, v86
	v_mul_f32_e32 v89, 0xbf2c7751, v131
	;; [unrolled: 1-line block ×4, first 2 shown]
	v_add_f32_e32 v61, v67, v61
	v_fmamk_f32 v67, v77, 0x3f7ee86f, v68
	v_mul_f32_e32 v160, 0x3f2c7751, v75
	v_mul_f32_e32 v181, 0x3f06c442, v131
	;; [unrolled: 1-line block ×4, first 2 shown]
	v_add_f32_e32 v61, v67, v61
	v_mul_f32_e32 v67, 0xbe8c1d8e, v79
	v_mul_f32_e32 v167, 0xbf59a7d5, v79
	;; [unrolled: 1-line block ×5, first 2 shown]
	v_fmamk_f32 v69, v76, 0x3f763a35, v67
	v_mul_f32_e32 v178, 0x3ee437d1, v86
	v_mul_f32_e32 v193, 0xbe3c28d5, v131
	;; [unrolled: 1-line block ×4, first 2 shown]
	v_add_f32_e32 v69, v69, v61
	v_mul_f32_e32 v61, 0xbf1a4643, v111
	v_dual_mul_f32 v183, 0xbf65296c, v78 :: v_dual_mul_f32 v196, 0xbf65296c, v75
	v_mul_f32_e32 v185, 0x3f7ee86f, v109
	v_mul_f32_e32 v187, 0xbf1a4643, v150
	s_delay_alu instid0(VALU_DEP_4)
	v_fmamk_f32 v81, v108, 0x3f4c4adb, v61
	v_mul_f32_e32 v189, 0xbf7ba420, v130
	v_mul_f32_e32 v205, 0x3f65296c, v131
	;; [unrolled: 1-line block ×4, first 2 shown]
	v_add_f32_e32 v81, v81, v69
	v_fmamk_f32 v69, v60, 0x3f3d2fb0, v89
	v_mul_f32_e32 v203, 0x3f6eb680, v79
	v_mul_f32_e32 v195, 0x3eb8f4ab, v78
	;; [unrolled: 1-line block ×3, first 2 shown]
	v_dual_mul_f32 v198, 0x3f4c4adb, v87 :: v_dual_mul_f32 v207, 0x3f4c4adb, v78
	v_add_f32_e32 v82, v69, v122
	v_mul_f32_e32 v69, 0xbf59a7d5, v110
	v_mul_f32_e32 v112, 0xbf65296c, v129
	;; [unrolled: 1-line block ×5, first 2 shown]
	v_fmamk_f32 v83, v107, 0x3f06c442, v69
	v_mul_f32_e32 v224, 0x3ee437d1, v150
	v_mul_f32_e32 v208, 0xbeb8f4ab, v75
	;; [unrolled: 1-line block ×4, first 2 shown]
	v_add_f32_e32 v91, v83, v81
	v_fmamk_f32 v81, v62, 0x3ee437d1, v112
	v_mul_f32_e32 v83, 0xbf4c4adb, v109
	v_mul_f32_e32 v213, 0xbe8c1d8e, v130
	;; [unrolled: 1-line block ×4, first 2 shown]
	v_add_f32_e32 v81, v81, v82
	v_fmamk_f32 v82, v73, 0x3dbcf732, v92
	v_mul_f32_e32 v111, 0x3ee437d1, v111
	v_fmac_f32_e32 v71, 0xbf2c7751, v63
	v_fmac_f32_e32 v67, 0xbf763a35, v76
	;; [unrolled: 1-line block ×3, first 2 shown]
	v_dual_add_f32 v81, v82, v81 :: v_dual_fmamk_f32 v82, v72, 0xbe8c1d8e, v90
	v_mul_f32_e32 v190, 0x3f6eb680, v86
	v_mul_f32_e32 v214, 0xbf59a7d5, v86
	;; [unrolled: 1-line block ×3, first 2 shown]
	s_delay_alu instid0(VALU_DEP_4) | instskip(SKIP_3) | instid1(VALU_DEP_3)
	v_dual_mul_f32 v86, 0x3f3d2fb0, v86 :: v_dual_add_f32 v81, v82, v81
	v_fmamk_f32 v82, v85, 0xbf1a4643, v83
	v_mul_f32_e32 v206, 0xbf7ee86f, v129
	v_fmac_f32_e32 v68, 0xbf7ee86f, v77
	v_dual_fmac_f32 v70, 0xbf65296c, v66 :: v_dual_add_f32 v81, v82, v81
	v_mul_f32_e32 v82, 0xbf06c442, v87
	s_delay_alu instid0(VALU_DEP_1) | instskip(NEXT) | instid1(VALU_DEP_1)
	v_fmamk_f32 v121, v84, 0xbf59a7d5, v82
	v_add_f32_e32 v121, v121, v81
	v_mul_f32_e32 v81, 0xbf7ba420, v150
	s_delay_alu instid0(VALU_DEP_1) | instskip(NEXT) | instid1(VALU_DEP_1)
	v_fmamk_f32 v122, v56, 0x3e3c28d5, v81
	v_add_f32_e32 v122, v122, v91
	v_mul_f32_e32 v91, 0xbe3c28d5, v151
	s_delay_alu instid0(VALU_DEP_1) | instskip(SKIP_1) | instid1(VALU_DEP_2)
	v_fmamk_f32 v124, v57, 0xbf7ba420, v91
	v_fmac_f32_e32 v81, 0xbe3c28d5, v56
	v_dual_add_f32 v121, v124, v121 :: v_dual_fmamk_f32 v124, v63, 0x3f4c4adb, v152
	v_fmac_f32_e32 v152, 0xbf4c4adb, v63
	s_delay_alu instid0(VALU_DEP_2) | instskip(NEXT) | instid1(VALU_DEP_1)
	v_dual_add_f32 v123, v124, v123 :: v_dual_fmamk_f32 v124, v66, 0xbe3c28d5, v153
	v_dual_add_f32 v123, v124, v123 :: v_dual_fmamk_f32 v124, v77, 0xbf763a35, v154
	s_delay_alu instid0(VALU_DEP_1) | instskip(SKIP_1) | instid1(VALU_DEP_1)
	v_dual_fmac_f32 v154, 0x3f763a35, v77 :: v_dual_add_f32 v123, v124, v123
	v_fmamk_f32 v124, v76, 0xbf2c7751, v155
	v_add_f32_e32 v123, v124, v123
	v_fmamk_f32 v124, v108, 0x3eb8f4ab, v156
	s_delay_alu instid0(VALU_DEP_1) | instskip(SKIP_1) | instid1(VALU_DEP_1)
	v_add_f32_e32 v123, v124, v123
	v_fmamk_f32 v124, v60, 0xbf1a4643, v157
	v_dual_add_f32 v124, v124, v137 :: v_dual_mul_f32 v137, 0x3dbcf732, v110
	v_fmac_f32_e32 v69, 0xbf06c442, v107
	s_delay_alu instid0(VALU_DEP_2) | instskip(NEXT) | instid1(VALU_DEP_1)
	v_fmamk_f32 v125, v107, 0x3f7ee86f, v137
	v_add_f32_e32 v123, v125, v123
	v_fmamk_f32 v125, v62, 0xbf7ba420, v158
	s_delay_alu instid0(VALU_DEP_1) | instskip(SKIP_1) | instid1(VALU_DEP_1)
	v_add_f32_e32 v124, v125, v124
	v_fmamk_f32 v125, v73, 0xbe8c1d8e, v159
	v_dual_add_f32 v124, v125, v124 :: v_dual_fmamk_f32 v125, v72, 0x3f3d2fb0, v160
	s_delay_alu instid0(VALU_DEP_1) | instskip(SKIP_2) | instid1(VALU_DEP_2)
	v_add_f32_e32 v124, v125, v124
	v_fmamk_f32 v125, v85, 0x3f6eb680, v161
	v_fmac_f32_e32 v156, 0xbeb8f4ab, v108
	v_dual_add_f32 v124, v125, v124 :: v_dual_fmamk_f32 v125, v84, 0x3dbcf732, v162
	s_delay_alu instid0(VALU_DEP_1) | instskip(NEXT) | instid1(VALU_DEP_1)
	v_dual_add_f32 v125, v125, v124 :: v_dual_fmamk_f32 v124, v56, 0x3f06c442, v163
	v_dual_add_f32 v124, v124, v123 :: v_dual_fmamk_f32 v123, v57, 0xbf59a7d5, v164
	v_fmac_f32_e32 v153, 0x3e3c28d5, v66
	s_delay_alu instid0(VALU_DEP_2) | instskip(SKIP_1) | instid1(VALU_DEP_1)
	v_add_f32_e32 v123, v123, v125
	v_fmamk_f32 v125, v63, 0x3f7ee86f, v165
	v_add_f32_e32 v125, v125, v145
	v_mul_f32_e32 v145, 0xbf1a4643, v128
	s_delay_alu instid0(VALU_DEP_1) | instskip(SKIP_1) | instid1(VALU_DEP_2)
	v_fmamk_f32 v126, v66, 0x3f4c4adb, v145
	v_fmac_f32_e32 v145, 0xbf4c4adb, v66
	v_dual_add_f32 v125, v126, v125 :: v_dual_fmamk_f32 v126, v77, 0x3e3c28d5, v166
	v_fmac_f32_e32 v166, 0xbe3c28d5, v77
	s_delay_alu instid0(VALU_DEP_2) | instskip(NEXT) | instid1(VALU_DEP_1)
	v_dual_add_f32 v125, v126, v125 :: v_dual_fmamk_f32 v126, v76, 0xbf06c442, v167
	v_dual_add_f32 v125, v126, v125 :: v_dual_fmamk_f32 v126, v108, 0xbf763a35, v168
	s_delay_alu instid0(VALU_DEP_1) | instskip(SKIP_1) | instid1(VALU_DEP_1)
	v_dual_fmac_f32 v168, 0x3f763a35, v108 :: v_dual_add_f32 v125, v126, v125
	v_fmamk_f32 v126, v60, 0x3dbcf732, v169
	v_dual_fmac_f32 v137, 0xbf7ee86f, v107 :: v_dual_add_f32 v126, v126, v138
	v_mul_f32_e32 v138, 0x3ee437d1, v110
	s_delay_alu instid0(VALU_DEP_1) | instskip(NEXT) | instid1(VALU_DEP_1)
	v_fmamk_f32 v170, v107, 0xbf65296c, v138
	v_dual_fmac_f32 v138, 0x3f65296c, v107 :: v_dual_add_f32 v125, v170, v125
	v_mul_f32_e32 v170, 0xbf4c4adb, v129
	s_delay_alu instid0(VALU_DEP_1) | instskip(NEXT) | instid1(VALU_DEP_1)
	v_fmamk_f32 v171, v62, 0xbf1a4643, v170
	v_add_f32_e32 v126, v171, v126
	v_mul_f32_e32 v171, 0xbe3c28d5, v78
	v_fmac_f32_e32 v155, 0x3f2c7751, v76
	s_delay_alu instid0(VALU_DEP_2) | instskip(NEXT) | instid1(VALU_DEP_1)
	v_fmamk_f32 v172, v73, 0xbf7ba420, v171
	v_add_f32_e32 v126, v172, v126
	v_mul_f32_e32 v172, 0x3f06c442, v75
	s_delay_alu instid0(VALU_DEP_1) | instskip(NEXT) | instid1(VALU_DEP_1)
	v_fmamk_f32 v173, v72, 0xbf59a7d5, v172
	v_dual_add_f32 v126, v173, v126 :: v_dual_mul_f32 v173, 0x3f763a35, v109
	s_delay_alu instid0(VALU_DEP_1) | instskip(NEXT) | instid1(VALU_DEP_1)
	v_fmamk_f32 v174, v85, 0xbe8c1d8e, v173
	v_add_f32_e32 v126, v174, v126
	v_mul_f32_e32 v174, 0x3f65296c, v87
	s_delay_alu instid0(VALU_DEP_1) | instskip(NEXT) | instid1(VALU_DEP_1)
	v_fmamk_f32 v175, v84, 0x3ee437d1, v174
	v_dual_add_f32 v175, v175, v126 :: v_dual_fmamk_f32 v126, v56, 0xbeb8f4ab, v176
	s_delay_alu instid0(VALU_DEP_1) | instskip(NEXT) | instid1(VALU_DEP_1)
	v_dual_add_f32 v126, v126, v125 :: v_dual_fmamk_f32 v125, v57, 0x3f6eb680, v177
	v_dual_fmac_f32 v176, 0x3eb8f4ab, v56 :: v_dual_add_f32 v125, v125, v175
	v_mul_lo_u16 v175, v95, 17
	s_delay_alu instid0(VALU_DEP_1) | instskip(NEXT) | instid1(VALU_DEP_1)
	v_and_b32_e32 v175, 0xffff, v175
	v_lshl_add_u32 v96, v175, 3, v96
	v_mul_f32_e32 v175, 0xbf59a7d5, v130
	ds_store_2addr_b64 v96, v[119:120], v[121:122] offset1:1
	ds_store_2addr_b64 v96, v[125:126], v[123:124] offset0:2 offset1:3
	v_fmamk_f32 v119, v63, 0xbf06c442, v175
	s_delay_alu instid0(VALU_DEP_1) | instskip(SKIP_1) | instid1(VALU_DEP_1)
	v_add_f32_e32 v119, v119, v143
	v_mul_f32_e32 v143, 0x3f3d2fb0, v128
	v_fmamk_f32 v120, v66, 0xbf2c7751, v143
	s_delay_alu instid0(VALU_DEP_1) | instskip(NEXT) | instid1(VALU_DEP_1)
	v_dual_add_f32 v119, v120, v119 :: v_dual_fmamk_f32 v120, v77, 0x3f65296c, v178
	v_dual_fmac_f32 v178, 0xbf65296c, v77 :: v_dual_add_f32 v119, v120, v119
	v_fmamk_f32 v120, v76, 0x3e3c28d5, v179
	s_delay_alu instid0(VALU_DEP_1) | instskip(SKIP_1) | instid1(VALU_DEP_1)
	v_add_f32_e32 v119, v120, v119
	v_fmamk_f32 v120, v108, 0xbf7ee86f, v180
	v_dual_fmac_f32 v180, 0x3f7ee86f, v108 :: v_dual_add_f32 v119, v120, v119
	v_fmamk_f32 v120, v60, 0xbf59a7d5, v181
	s_delay_alu instid0(VALU_DEP_1) | instskip(SKIP_1) | instid1(VALU_DEP_1)
	v_dual_fmac_f32 v163, 0xbf06c442, v56 :: v_dual_add_f32 v120, v120, v135
	v_mul_f32_e32 v135, 0x3f6eb680, v110
	v_fmamk_f32 v121, v107, 0x3eb8f4ab, v135
	s_delay_alu instid0(VALU_DEP_1) | instskip(SKIP_1) | instid1(VALU_DEP_1)
	v_add_f32_e32 v119, v121, v119
	v_fmamk_f32 v121, v62, 0x3f3d2fb0, v182
	v_add_f32_e32 v120, v121, v120
	v_fmamk_f32 v121, v73, 0x3ee437d1, v183
	s_delay_alu instid0(VALU_DEP_1) | instskip(SKIP_1) | instid1(VALU_DEP_1)
	v_dual_fmac_f32 v165, 0xbf7ee86f, v63 :: v_dual_add_f32 v120, v121, v120
	v_fmamk_f32 v121, v72, 0xbf7ba420, v184
	v_add_f32_e32 v120, v121, v120
	v_fmamk_f32 v121, v85, 0x3dbcf732, v185
	v_fmac_f32_e32 v167, 0x3f06c442, v76
	s_delay_alu instid0(VALU_DEP_2) | instskip(NEXT) | instid1(VALU_DEP_1)
	v_dual_add_f32 v120, v121, v120 :: v_dual_fmamk_f32 v121, v84, 0x3f6eb680, v186
	v_dual_add_f32 v121, v121, v120 :: v_dual_fmamk_f32 v120, v56, 0x3f4c4adb, v187
	s_delay_alu instid0(VALU_DEP_1) | instskip(NEXT) | instid1(VALU_DEP_1)
	v_dual_add_f32 v120, v120, v119 :: v_dual_fmamk_f32 v119, v57, 0xbf1a4643, v188
	v_add_f32_e32 v119, v119, v121
	v_fmamk_f32 v121, v63, 0x3e3c28d5, v189
	s_delay_alu instid0(VALU_DEP_1) | instskip(SKIP_1) | instid1(VALU_DEP_1)
	v_add_f32_e32 v121, v121, v144
	v_mul_f32_e32 v144, 0xbe8c1d8e, v128
	v_fmamk_f32 v122, v66, 0xbf763a35, v144
	s_delay_alu instid0(VALU_DEP_1) | instskip(SKIP_2) | instid1(VALU_DEP_2)
	v_dual_fmac_f32 v144, 0x3f763a35, v66 :: v_dual_add_f32 v121, v122, v121
	v_fmamk_f32 v122, v77, 0xbeb8f4ab, v190
	v_fmac_f32_e32 v190, 0x3eb8f4ab, v77
	v_dual_add_f32 v121, v122, v121 :: v_dual_fmamk_f32 v122, v76, 0x3f65296c, v191
	s_delay_alu instid0(VALU_DEP_1) | instskip(NEXT) | instid1(VALU_DEP_1)
	v_dual_add_f32 v121, v122, v121 :: v_dual_fmamk_f32 v122, v108, 0x3f06c442, v192
	v_dual_fmac_f32 v192, 0xbf06c442, v108 :: v_dual_add_f32 v121, v122, v121
	v_fmamk_f32 v122, v60, 0xbf7ba420, v193
	v_fmac_f32_e32 v179, 0xbe3c28d5, v76
	s_delay_alu instid0(VALU_DEP_2) | instskip(SKIP_1) | instid1(VALU_DEP_1)
	v_add_f32_e32 v122, v122, v136
	v_mul_f32_e32 v136, 0xbf1a4643, v110
	v_fmamk_f32 v123, v107, 0xbf4c4adb, v136
	s_delay_alu instid0(VALU_DEP_1) | instskip(SKIP_1) | instid1(VALU_DEP_1)
	v_dual_fmac_f32 v136, 0x3f4c4adb, v107 :: v_dual_add_f32 v121, v123, v121
	v_fmamk_f32 v123, v62, 0xbe8c1d8e, v194
	v_dual_add_f32 v122, v123, v122 :: v_dual_fmamk_f32 v123, v73, 0x3f6eb680, v195
	s_delay_alu instid0(VALU_DEP_1) | instskip(SKIP_1) | instid1(VALU_DEP_2)
	v_dual_add_f32 v122, v123, v122 :: v_dual_fmamk_f32 v123, v72, 0x3ee437d1, v196
	v_fmac_f32_e32 v143, 0x3f2c7751, v66
	v_dual_add_f32 v122, v123, v122 :: v_dual_fmamk_f32 v123, v85, 0xbf59a7d5, v197
	s_delay_alu instid0(VALU_DEP_1) | instskip(NEXT) | instid1(VALU_DEP_1)
	v_dual_add_f32 v122, v123, v122 :: v_dual_fmamk_f32 v123, v84, 0xbf1a4643, v198
	v_dual_add_f32 v123, v123, v122 :: v_dual_fmamk_f32 v122, v56, 0xbf2c7751, v199
	s_delay_alu instid0(VALU_DEP_1) | instskip(SKIP_2) | instid1(VALU_DEP_2)
	v_dual_fmac_f32 v199, 0x3f2c7751, v56 :: v_dual_add_f32 v122, v122, v121
	v_fmamk_f32 v121, v57, 0x3f3d2fb0, v200
	v_fmac_f32_e32 v175, 0x3f06c442, v63
	v_add_f32_e32 v121, v121, v123
	v_fmamk_f32 v123, v63, 0xbf65296c, v201
	s_delay_alu instid0(VALU_DEP_1) | instskip(SKIP_1) | instid1(VALU_DEP_1)
	v_add_f32_e32 v123, v123, v141
	v_mul_f32_e32 v141, 0x3dbcf732, v128
	v_fmamk_f32 v124, v66, 0x3f7ee86f, v141
	s_delay_alu instid0(VALU_DEP_1) | instskip(NEXT) | instid1(VALU_DEP_1)
	v_dual_add_f32 v123, v124, v123 :: v_dual_fmamk_f32 v124, v77, 0xbf4c4adb, v202
	v_dual_fmac_f32 v202, 0x3f4c4adb, v77 :: v_dual_add_f32 v123, v124, v123
	v_fmamk_f32 v124, v76, 0x3eb8f4ab, v203
	s_delay_alu instid0(VALU_DEP_1) | instskip(SKIP_1) | instid1(VALU_DEP_1)
	v_add_f32_e32 v123, v124, v123
	v_fmamk_f32 v124, v108, 0x3e3c28d5, v204
	v_dual_fmac_f32 v204, 0xbe3c28d5, v108 :: v_dual_add_f32 v123, v124, v123
	v_fmamk_f32 v124, v60, 0x3ee437d1, v205
	s_delay_alu instid0(VALU_DEP_1) | instskip(SKIP_1) | instid1(VALU_DEP_1)
	v_dual_fmac_f32 v191, 0xbf65296c, v76 :: v_dual_add_f32 v124, v124, v133
	v_mul_f32_e32 v133, 0x3f3d2fb0, v110
	v_fmamk_f32 v125, v107, 0xbf2c7751, v133
	s_delay_alu instid0(VALU_DEP_1) | instskip(SKIP_1) | instid1(VALU_DEP_1)
	v_add_f32_e32 v123, v125, v123
	v_fmamk_f32 v125, v62, 0x3dbcf732, v206
	v_add_f32_e32 v124, v125, v124
	v_fmamk_f32 v125, v73, 0xbf1a4643, v207
	s_delay_alu instid0(VALU_DEP_1) | instskip(SKIP_1) | instid1(VALU_DEP_1)
	v_dual_fmac_f32 v135, 0xbeb8f4ab, v107 :: v_dual_add_f32 v124, v125, v124
	v_fmamk_f32 v125, v72, 0x3f6eb680, v208
	v_add_f32_e32 v124, v125, v124
	v_fmamk_f32 v125, v85, 0xbf7ba420, v209
	v_fmac_f32_e32 v187, 0xbf4c4adb, v56
	s_delay_alu instid0(VALU_DEP_2) | instskip(SKIP_1) | instid1(VALU_DEP_2)
	v_dual_add_f32 v124, v125, v124 :: v_dual_fmamk_f32 v125, v84, 0x3f3d2fb0, v210
	v_fmac_f32_e32 v189, 0xbe3c28d5, v63
	v_dual_add_f32 v125, v125, v124 :: v_dual_fmamk_f32 v124, v56, 0x3f763a35, v211
	s_delay_alu instid0(VALU_DEP_1) | instskip(NEXT) | instid1(VALU_DEP_1)
	v_dual_add_f32 v124, v124, v123 :: v_dual_fmamk_f32 v123, v57, 0xbe8c1d8e, v212
	v_add_f32_e32 v123, v123, v125
	v_fmamk_f32 v125, v63, 0xbf763a35, v213
	s_delay_alu instid0(VALU_DEP_1) | instskip(NEXT) | instid1(VALU_DEP_1)
	v_dual_add_f32 v125, v125, v142 :: v_dual_mul_f32 v142, 0x3f6eb680, v128
	v_fmamk_f32 v126, v66, 0x3eb8f4ab, v142
	s_delay_alu instid0(VALU_DEP_1) | instskip(SKIP_2) | instid1(VALU_DEP_2)
	v_dual_fmac_f32 v142, 0xbeb8f4ab, v66 :: v_dual_add_f32 v125, v126, v125
	v_fmamk_f32 v126, v77, 0x3f06c442, v214
	v_fmac_f32_e32 v214, 0xbf06c442, v77
	v_dual_add_f32 v125, v126, v125 :: v_dual_fmamk_f32 v126, v76, 0xbf7ee86f, v215
	s_delay_alu instid0(VALU_DEP_1) | instskip(NEXT) | instid1(VALU_DEP_1)
	v_dual_add_f32 v125, v126, v125 :: v_dual_fmamk_f32 v126, v108, 0x3f2c7751, v216
	v_dual_fmac_f32 v216, 0xbf2c7751, v108 :: v_dual_add_f32 v125, v126, v125
	v_fmamk_f32 v126, v60, 0xbe8c1d8e, v217
	s_delay_alu instid0(VALU_DEP_1) | instskip(SKIP_2) | instid1(VALU_DEP_2)
	v_add_f32_e32 v126, v126, v134
	v_mul_f32_e32 v134, 0xbf7ba420, v110
	v_mul_f32_e32 v110, 0xbe8c1d8e, v110
	v_fmamk_f32 v218, v107, 0x3e3c28d5, v134
	s_delay_alu instid0(VALU_DEP_1) | instskip(SKIP_1) | instid1(VALU_DEP_1)
	v_dual_fmac_f32 v134, 0xbe3c28d5, v107 :: v_dual_add_f32 v125, v218, v125
	v_mul_f32_e32 v218, 0xbeb8f4ab, v129
	v_fmamk_f32 v219, v62, 0x3f6eb680, v218
	s_delay_alu instid0(VALU_DEP_1) | instskip(SKIP_1) | instid1(VALU_DEP_1)
	v_add_f32_e32 v126, v219, v126
	v_mul_f32_e32 v219, 0xbf06c442, v78
	v_fmamk_f32 v220, v73, 0xbf59a7d5, v219
	s_delay_alu instid0(VALU_DEP_1) | instskip(SKIP_2) | instid1(VALU_DEP_2)
	v_add_f32_e32 v126, v220, v126
	v_mul_f32_e32 v220, 0x3f7ee86f, v75
	v_mul_f32_e32 v75, 0xbf4c4adb, v75
	v_fmamk_f32 v221, v72, 0x3dbcf732, v220
	s_delay_alu instid0(VALU_DEP_1) | instskip(SKIP_1) | instid1(VALU_DEP_2)
	v_dual_add_f32 v126, v221, v126 :: v_dual_mul_f32 v221, 0xbf2c7751, v109
	v_mul_f32_e32 v109, 0x3f65296c, v109
	v_fmamk_f32 v222, v85, 0x3f3d2fb0, v221
	s_delay_alu instid0(VALU_DEP_1) | instskip(SKIP_2) | instid1(VALU_DEP_2)
	v_dual_fmac_f32 v133, 0x3f2c7751, v107 :: v_dual_add_f32 v126, v222, v126
	v_mul_f32_e32 v222, 0xbe3c28d5, v87
	v_mul_f32_e32 v87, 0xbf763a35, v87
	v_fmamk_f32 v223, v84, 0xbf7ba420, v222
	s_delay_alu instid0(VALU_DEP_1) | instskip(NEXT) | instid1(VALU_DEP_1)
	v_dual_add_f32 v223, v223, v126 :: v_dual_fmamk_f32 v126, v56, 0xbf65296c, v224
	v_dual_add_f32 v126, v126, v125 :: v_dual_fmamk_f32 v125, v57, 0x3ee437d1, v225
	v_dual_fmac_f32 v224, 0x3f65296c, v56 :: v_dual_fmac_f32 v201, 0x3f65296c, v63
	s_delay_alu instid0(VALU_DEP_2)
	v_add_f32_e32 v125, v125, v223
	ds_store_2addr_b64 v96, v[121:122], v[119:120] offset0:4 offset1:5
	ds_store_2addr_b64 v96, v[125:126], v[123:124] offset0:6 offset1:7
	v_mul_f32_e32 v119, 0x3f6eb680, v130
	v_mul_f32_e32 v121, 0xbf59a7d5, v128
	v_mul_f32_e32 v124, 0xbf06c442, v129
	s_delay_alu instid0(VALU_DEP_3) | instskip(NEXT) | instid1(VALU_DEP_3)
	v_fmamk_f32 v120, v63, 0xbeb8f4ab, v119
	v_fmamk_f32 v122, v66, 0x3f06c442, v121
	s_delay_alu instid0(VALU_DEP_3) | instskip(SKIP_1) | instid1(VALU_DEP_4)
	v_fmamk_f32 v125, v62, 0xbf59a7d5, v124
	v_fmac_f32_e32 v119, 0x3eb8f4ab, v63
	v_dual_fmac_f32 v121, 0xbf06c442, v66 :: v_dual_add_f32 v120, v120, v140
	v_fmac_f32_e32 v203, 0xbeb8f4ab, v76
	s_delay_alu instid0(VALU_DEP_2) | instskip(SKIP_1) | instid1(VALU_DEP_1)
	v_dual_add_f32 v119, v119, v139 :: v_dual_add_f32 v120, v122, v120
	v_fmamk_f32 v122, v77, 0xbf2c7751, v86
	v_dual_add_f32 v119, v121, v119 :: v_dual_add_f32 v120, v122, v120
	v_mul_f32_e32 v122, 0xbf1a4643, v79
	s_delay_alu instid0(VALU_DEP_1) | instskip(NEXT) | instid1(VALU_DEP_1)
	v_fmamk_f32 v79, v76, 0x3f4c4adb, v122
	v_dual_add_f32 v79, v79, v120 :: v_dual_fmamk_f32 v120, v108, 0xbf65296c, v111
	v_fmac_f32_e32 v111, 0x3f65296c, v108
	s_delay_alu instid0(VALU_DEP_2) | instskip(SKIP_1) | instid1(VALU_DEP_1)
	v_add_f32_e32 v79, v120, v79
	v_mul_f32_e32 v120, 0x3eb8f4ab, v131
	v_fmamk_f32 v123, v60, 0x3f6eb680, v120
	v_fma_f32 v120, 0x3f6eb680, v60, -v120
	s_delay_alu instid0(VALU_DEP_2) | instskip(NEXT) | instid1(VALU_DEP_1)
	v_dual_add_f32 v123, v123, v132 :: v_dual_fmac_f32 v86, 0x3f2c7751, v77
	v_dual_add_f32 v120, v120, v146 :: v_dual_add_f32 v123, v125, v123
	s_delay_alu instid0(VALU_DEP_2) | instskip(SKIP_3) | instid1(VALU_DEP_4)
	v_dual_fmamk_f32 v125, v107, 0x3f763a35, v110 :: v_dual_add_f32 v86, v86, v119
	v_fma_f32 v119, 0xbf59a7d5, v62, -v124
	v_mul_f32_e32 v126, 0x3f7ee86f, v151
	v_fmac_f32_e32 v110, 0xbf763a35, v107
	v_add_f32_e32 v79, v125, v79
	v_mul_f32_e32 v125, 0x3f2c7751, v78
	v_add_f32_e32 v119, v119, v120
	v_fmac_f32_e32 v211, 0xbf763a35, v56
	s_delay_alu instid0(VALU_DEP_3) | instskip(SKIP_1) | instid1(VALU_DEP_2)
	v_fmamk_f32 v78, v73, 0x3f3d2fb0, v125
	v_fma_f32 v120, 0x3f3d2fb0, v73, -v125
	v_dual_add_f32 v78, v78, v123 :: v_dual_fmamk_f32 v123, v72, 0xbf1a4643, v75
	s_delay_alu instid0(VALU_DEP_2) | instskip(SKIP_2) | instid1(VALU_DEP_4)
	v_dual_fmac_f32 v122, 0xbf4c4adb, v76 :: v_dual_add_f32 v119, v120, v119
	v_fma_f32 v75, 0xbf1a4643, v72, -v75
	v_fmac_f32_e32 v141, 0xbf7ee86f, v66
	v_dual_add_f32 v78, v123, v78 :: v_dual_fmamk_f32 v123, v85, 0x3ee437d1, v109
	s_delay_alu instid0(VALU_DEP_3) | instskip(SKIP_2) | instid1(VALU_DEP_4)
	v_dual_add_f32 v86, v122, v86 :: v_dual_add_f32 v75, v75, v119
	v_fma_f32 v109, 0x3ee437d1, v85, -v109
	v_fma_f32 v119, 0x3f6eb680, v62, -v218
	v_dual_add_f32 v78, v123, v78 :: v_dual_fmamk_f32 v123, v84, 0xbe8c1d8e, v87
	s_delay_alu instid0(VALU_DEP_3) | instskip(SKIP_2) | instid1(VALU_DEP_4)
	v_dual_add_f32 v86, v111, v86 :: v_dual_add_f32 v75, v109, v75
	v_fma_f32 v87, 0xbe8c1d8e, v84, -v87
	v_fma_f32 v109, 0x3dbcf732, v57, -v126
	v_add_f32_e32 v78, v123, v78
	v_mul_f32_e32 v123, 0x3dbcf732, v150
	s_delay_alu instid0(VALU_DEP_4) | instskip(SKIP_2) | instid1(VALU_DEP_4)
	v_dual_add_f32 v86, v110, v86 :: v_dual_add_f32 v75, v87, v75
	v_fma_f32 v110, 0x3dbcf732, v62, -v206
	v_fma_f32 v111, 0xbe8c1d8e, v57, -v212
	v_fmamk_f32 v128, v56, 0xbf7ee86f, v123
	v_fmac_f32_e32 v123, 0x3f7ee86f, v56
	s_delay_alu instid0(VALU_DEP_2) | instskip(NEXT) | instid1(VALU_DEP_2)
	v_add_f32_e32 v79, v128, v79
	v_dual_add_f32 v87, v123, v86 :: v_dual_add_f32 v86, v109, v75
	v_add_f32_e32 v75, v201, v147
	v_fma_f32 v109, 0x3ee437d1, v60, -v205
	v_fmac_f32_e32 v213, 0x3f763a35, v63
	v_fmamk_f32 v128, v57, 0x3dbcf732, v126
	v_fmac_f32_e32 v215, 0x3f7ee86f, v76
	v_add_f32_e32 v75, v141, v75
	v_add_f32_e32 v109, v109, v148
	s_delay_alu instid0(VALU_DEP_4) | instskip(NEXT) | instid1(VALU_DEP_3)
	v_dual_add_f32 v63, v71, v65 :: v_dual_add_f32 v78, v128, v78
	v_add_f32_e32 v75, v202, v75
	s_delay_alu instid0(VALU_DEP_3) | instskip(SKIP_1) | instid1(VALU_DEP_4)
	v_add_f32_e32 v109, v110, v109
	v_fma_f32 v110, 0xbf1a4643, v73, -v207
	v_add_f32_e32 v63, v70, v63
	s_delay_alu instid0(VALU_DEP_4) | instskip(NEXT) | instid1(VALU_DEP_3)
	v_add_f32_e32 v75, v203, v75
	v_add_f32_e32 v109, v110, v109
	v_fma_f32 v110, 0x3f6eb680, v72, -v208
	s_delay_alu instid0(VALU_DEP_4) | instskip(NEXT) | instid1(VALU_DEP_4)
	v_add_f32_e32 v63, v68, v63
	v_add_f32_e32 v75, v204, v75
	s_delay_alu instid0(VALU_DEP_3) | instskip(SKIP_1) | instid1(VALU_DEP_3)
	v_add_f32_e32 v109, v110, v109
	v_fma_f32 v110, 0xbf7ba420, v85, -v209
	v_add_f32_e32 v75, v133, v75
	v_add_f32_e32 v63, v67, v63
	s_delay_alu instid0(VALU_DEP_3) | instskip(SKIP_1) | instid1(VALU_DEP_3)
	v_add_f32_e32 v109, v110, v109
	v_fma_f32 v110, 0x3f3d2fb0, v84, -v210
	v_add_f32_e32 v61, v61, v63
	s_delay_alu instid0(VALU_DEP_2) | instskip(SKIP_1) | instid1(VALU_DEP_3)
	v_dual_add_f32 v109, v110, v109 :: v_dual_add_f32 v110, v211, v75
	v_add_f32_e32 v75, v213, v149
	v_add_f32_e32 v61, v69, v61
	s_delay_alu instid0(VALU_DEP_3) | instskip(SKIP_1) | instid1(VALU_DEP_4)
	v_add_f32_e32 v109, v111, v109
	v_fma_f32 v111, 0xbe8c1d8e, v60, -v217
	v_add_f32_e32 v75, v142, v75
	s_delay_alu instid0(VALU_DEP_2) | instskip(NEXT) | instid1(VALU_DEP_2)
	v_add_f32_e32 v111, v111, v127
	v_add_f32_e32 v75, v214, v75
	s_delay_alu instid0(VALU_DEP_2) | instskip(NEXT) | instid1(VALU_DEP_2)
	v_add_f32_e32 v111, v119, v111
	v_add_f32_e32 v75, v215, v75
	v_fma_f32 v119, 0xbf59a7d5, v73, -v219
	s_delay_alu instid0(VALU_DEP_2) | instskip(NEXT) | instid1(VALU_DEP_2)
	v_add_f32_e32 v75, v216, v75
	v_add_f32_e32 v111, v119, v111
	v_fma_f32 v119, 0x3dbcf732, v72, -v220
	s_delay_alu instid0(VALU_DEP_3) | instskip(NEXT) | instid1(VALU_DEP_2)
	v_add_f32_e32 v75, v134, v75
	v_add_f32_e32 v111, v119, v111
	v_fma_f32 v119, 0x3f3d2fb0, v85, -v221
	s_delay_alu instid0(VALU_DEP_3) | instskip(NEXT) | instid1(VALU_DEP_2)
	v_dual_add_f32 v120, v224, v75 :: v_dual_add_f32 v75, v175, v118
	v_add_f32_e32 v111, v119, v111
	v_fma_f32 v119, 0xbf7ba420, v84, -v222
	s_delay_alu instid0(VALU_DEP_3) | instskip(NEXT) | instid1(VALU_DEP_2)
	v_add_f32_e32 v75, v143, v75
	v_add_f32_e32 v111, v119, v111
	v_fma_f32 v119, 0x3ee437d1, v57, -v225
	s_delay_alu instid0(VALU_DEP_3) | instskip(NEXT) | instid1(VALU_DEP_2)
	v_add_f32_e32 v75, v178, v75
	v_add_f32_e32 v119, v119, v111
	s_delay_alu instid0(VALU_DEP_2) | instskip(SKIP_1) | instid1(VALU_DEP_2)
	v_add_f32_e32 v75, v179, v75
	v_fma_f32 v111, 0xbf59a7d5, v60, -v181
	v_add_f32_e32 v75, v180, v75
	s_delay_alu instid0(VALU_DEP_2) | instskip(SKIP_1) | instid1(VALU_DEP_3)
	v_add_f32_e32 v111, v111, v117
	v_fma_f32 v117, 0x3f3d2fb0, v62, -v182
	v_add_f32_e32 v75, v135, v75
	s_delay_alu instid0(VALU_DEP_2) | instskip(SKIP_1) | instid1(VALU_DEP_3)
	v_add_f32_e32 v111, v117, v111
	v_fma_f32 v117, 0x3ee437d1, v73, -v183
	v_dual_add_f32 v118, v187, v75 :: v_dual_add_f32 v75, v189, v116
	s_delay_alu instid0(VALU_DEP_2) | instskip(SKIP_1) | instid1(VALU_DEP_3)
	v_add_f32_e32 v111, v117, v111
	v_fma_f32 v117, 0xbf7ba420, v72, -v184
	v_add_f32_e32 v75, v144, v75
	s_delay_alu instid0(VALU_DEP_2) | instskip(SKIP_1) | instid1(VALU_DEP_3)
	v_add_f32_e32 v111, v117, v111
	v_fma_f32 v117, 0x3dbcf732, v85, -v185
	v_add_f32_e32 v75, v190, v75
	;; [unrolled: 4-line block ×5, first 2 shown]
	s_delay_alu instid0(VALU_DEP_2) | instskip(SKIP_1) | instid1(VALU_DEP_3)
	v_add_f32_e32 v111, v111, v115
	v_fma_f32 v115, 0xbe8c1d8e, v62, -v194
	v_dual_add_f32 v116, v199, v75 :: v_dual_add_f32 v75, v152, v114
	s_delay_alu instid0(VALU_DEP_2) | instskip(SKIP_1) | instid1(VALU_DEP_3)
	v_add_f32_e32 v111, v115, v111
	v_fma_f32 v115, 0x3f6eb680, v73, -v195
	v_add_f32_e32 v75, v153, v75
	s_delay_alu instid0(VALU_DEP_2) | instskip(SKIP_1) | instid1(VALU_DEP_3)
	v_add_f32_e32 v111, v115, v111
	v_fma_f32 v115, 0x3ee437d1, v72, -v196
	v_add_f32_e32 v75, v154, v75
	;; [unrolled: 4-line block ×5, first 2 shown]
	s_delay_alu instid0(VALU_DEP_2) | instskip(SKIP_1) | instid1(VALU_DEP_3)
	v_add_f32_e32 v115, v115, v111
	v_fma_f32 v111, 0xbf1a4643, v60, -v157
	v_dual_add_f32 v114, v163, v75 :: v_dual_add_f32 v75, v165, v80
	v_fma_f32 v80, 0x3dbcf732, v60, -v169
	v_fma_f32 v60, 0x3f3d2fb0, v60, -v89
	s_delay_alu instid0(VALU_DEP_4) | instskip(SKIP_1) | instid1(VALU_DEP_4)
	v_add_f32_e32 v111, v111, v113
	v_fma_f32 v113, 0xbf7ba420, v62, -v158
	v_dual_add_f32 v75, v145, v75 :: v_dual_add_f32 v74, v80, v74
	v_fma_f32 v80, 0xbf1a4643, v62, -v170
	v_add_f32_e32 v60, v60, v64
	v_fma_f32 v62, 0x3ee437d1, v62, -v112
	v_add_f32_e32 v111, v113, v111
	;; [unrolled: 2-line block ×5, first 2 shown]
	v_fma_f32 v113, 0x3f3d2fb0, v72, -v160
	v_dual_add_f32 v75, v166, v75 :: v_dual_add_f32 v74, v80, v74
	v_fma_f32 v80, 0xbf59a7d5, v72, -v172
	v_add_f32_e32 v60, v62, v60
	v_fma_f32 v62, 0xbe8c1d8e, v72, -v90
	v_add_f32_e32 v111, v113, v111
	v_fma_f32 v113, 0x3f6eb680, v85, -v161
	v_dual_add_f32 v75, v167, v75 :: v_dual_add_f32 v74, v80, v74
	v_fma_f32 v80, 0xbe8c1d8e, v85, -v173
	v_add_f32_e32 v60, v62, v60
	v_fma_f32 v62, 0xbf1a4643, v85, -v83
	v_add_f32_e32 v111, v113, v111
	;; [unrolled: 2-line block ×3, first 2 shown]
	v_add_f32_e32 v74, v80, v74
	v_fma_f32 v80, 0x3ee437d1, v84, -v174
	v_add_f32_e32 v60, v62, v60
	v_fma_f32 v62, 0xbf59a7d5, v84, -v82
	;; [unrolled: 2-line block ×3, first 2 shown]
	v_dual_add_f32 v75, v138, v75 :: v_dual_add_f32 v74, v80, v74
	v_fma_f32 v80, 0x3f6eb680, v57, -v177
	v_add_f32_e32 v56, v62, v60
	v_fma_f32 v60, 0xbf7ba420, v57, -v91
	v_add_f32_e32 v113, v113, v111
	v_add_f32_e32 v75, v176, v75
	v_dual_add_f32 v74, v80, v74 :: v_dual_add_f32 v57, v81, v61
	s_delay_alu instid0(VALU_DEP_4)
	v_add_f32_e32 v56, v60, v56
	ds_store_2addr_b64 v96, v[78:79], v[86:87] offset0:8 offset1:9
	ds_store_2addr_b64 v96, v[109:110], v[119:120] offset0:10 offset1:11
	;; [unrolled: 1-line block ×4, first 2 shown]
	ds_store_b64 v96, v[56:57] offset:128
.LBB0_13:
	s_wait_alu 0xfffe
	s_or_b32 exec_lo, exec_lo, s0
	global_wb scope:SCOPE_SE
	s_wait_dscnt 0x0
	s_barrier_signal -1
	s_barrier_wait -1
	global_inv scope:SCOPE_SE
	ds_load_2addr_b64 v[61:64], v97 offset0:204 offset1:255
	v_add_nc_u32_e32 v57, 0xc00, v97
	v_add_nc_u32_e32 v56, 0x800, v97
	s_wait_dscnt 0x0
	v_dual_mul_f32 v87, v17, v64 :: v_dual_add_nc_u32 v60, 0x1000, v97
	v_mul_f32_e32 v17, v17, v63
	ds_load_2addr_b64 v[65:68], v57 offset0:126 offset1:177
	ds_load_2addr_b64 v[69:72], v56 offset0:50 offset1:101
	ds_load_2addr_b64 v[73:76], v97 offset1:51
	ds_load_2addr_b64 v[77:80], v60 offset0:100 offset1:151
	ds_load_2addr_b64 v[81:84], v97 offset0:102 offset1:153
	ds_load_b64 v[85:86], v97 offset:5712
	ds_load_2addr_b64 v[89:92], v56 offset0:152 offset1:203
	v_fmac_f32_e32 v87, v16, v63
	v_fma_f32 v16, v16, v64, -v17
	global_wb scope:SCOPE_SE
	s_wait_dscnt 0x0
	s_barrier_signal -1
	s_barrier_wait -1
	global_inv scope:SCOPE_SE
	v_mul_f32_e32 v64, v15, v68
	v_dual_mul_f32 v96, v9, v72 :: v_dual_mul_f32 v17, v19, v66
	v_mul_f32_e32 v19, v19, v65
	v_mul_f32_e32 v63, v13, v70
	;; [unrolled: 1-line block ×4, first 2 shown]
	v_fmac_f32_e32 v64, v14, v67
	v_fmac_f32_e32 v17, v18, v65
	v_mul_f32_e32 v9, v9, v71
	v_fmac_f32_e32 v96, v8, v71
	v_fma_f32 v18, v18, v66, -v19
	v_dual_mul_f32 v66, v7, v80 :: v_dual_fmac_f32 v63, v12, v69
	v_fma_f32 v12, v12, v70, -v13
	v_mul_f32_e32 v19, v5, v90
	v_dual_mul_f32 v5, v5, v89 :: v_dual_mul_f32 v70, v3, v86
	v_mul_f32_e32 v7, v7, v79
	v_fma_f32 v13, v14, v68, -v15
	v_fma_f32 v15, v8, v72, -v9
	v_mul_f32_e32 v68, v1, v92
	v_fmac_f32_e32 v70, v2, v85
	v_fmac_f32_e32 v66, v6, v79
	v_fma_f32 v69, v6, v80, -v7
	v_add_f32_e32 v6, v74, v16
	v_fma_f32 v67, v4, v90, -v5
	v_dual_sub_f32 v5, v16, v18 :: v_dual_add_f32 v8, v75, v63
	v_mul_f32_e32 v1, v1, v91
	v_mul_f32_e32 v3, v3, v85
	;; [unrolled: 1-line block ×3, first 2 shown]
	v_dual_mul_f32 v11, v11, v77 :: v_dual_fmac_f32 v68, v0, v91
	s_delay_alu instid0(VALU_DEP_4) | instskip(SKIP_4) | instid1(VALU_DEP_4)
	v_fma_f32 v71, v0, v92, -v1
	v_dual_add_f32 v0, v87, v17 :: v_dual_add_f32 v1, v73, v87
	v_fma_f32 v72, v2, v86, -v3
	v_add_f32_e32 v3, v16, v18
	v_sub_f32_e32 v7, v87, v17
	v_fma_f32 v0, -0.5, v0, v73
	v_add_f32_e32 v2, v1, v17
	v_fmac_f32_e32 v14, v10, v77
	v_fma_f32 v1, -0.5, v3, v74
	v_fma_f32 v65, v10, v78, -v11
	v_add_f32_e32 v10, v76, v12
	v_dual_fmac_f32 v19, v4, v89 :: v_dual_fmamk_f32 v4, v5, 0xbf5db3d7, v0
	s_delay_alu instid0(VALU_DEP_4)
	v_dual_fmac_f32 v0, 0x3f5db3d7, v5 :: v_dual_fmamk_f32 v5, v7, 0x3f5db3d7, v1
	v_fmac_f32_e32 v1, 0xbf5db3d7, v7
	v_sub_f32_e32 v11, v63, v64
	v_sub_f32_e32 v9, v12, v13
	v_add_f32_e32 v7, v12, v13
	v_dual_add_f32 v3, v6, v18 :: v_dual_add_f32 v6, v63, v64
	v_dual_add_f32 v12, v81, v96 :: v_dual_add_f32 v63, v67, v69
	v_sub_f32_e32 v16, v96, v14
	v_add_f32_e32 v18, v83, v19
	s_delay_alu instid0(VALU_DEP_4)
	v_fma_f32 v75, -0.5, v6, v75
	v_add_f32_e32 v6, v8, v64
	v_add_f32_e32 v12, v12, v14
	;; [unrolled: 1-line block ×3, first 2 shown]
	v_fmac_f32_e32 v84, -0.5, v63
	v_fmamk_f32 v8, v9, 0xbf5db3d7, v75
	v_dual_fmac_f32 v76, -0.5, v7 :: v_dual_fmac_f32 v75, 0x3f5db3d7, v9
	v_dual_add_f32 v7, v10, v13 :: v_dual_add_f32 v10, v96, v14
	v_sub_f32_e32 v13, v15, v65
	s_delay_alu instid0(VALU_DEP_3)
	v_fmamk_f32 v9, v11, 0x3f5db3d7, v76
	v_dual_fmac_f32 v76, 0xbf5db3d7, v11 :: v_dual_add_f32 v11, v15, v65
	v_sub_f32_e32 v63, v19, v66
	v_add_f32_e32 v17, v19, v66
	v_fma_f32 v10, -0.5, v10, v81
	v_add_f32_e32 v15, v82, v15
	v_fma_f32 v11, -0.5, v11, v82
	v_fmamk_f32 v19, v63, 0x3f5db3d7, v84
	v_fmac_f32_e32 v84, 0xbf5db3d7, v63
	v_fma_f32 v83, -0.5, v17, v83
	v_sub_f32_e32 v17, v67, v69
	v_sub_f32_e32 v67, v68, v70
	v_dual_add_f32 v63, v71, v72 :: v_dual_fmamk_f32 v14, v13, 0xbf5db3d7, v10
	v_fmac_f32_e32 v10, 0x3f5db3d7, v13
	v_add_f32_e32 v13, v15, v65
	v_fmamk_f32 v15, v16, 0x3f5db3d7, v11
	v_dual_fmac_f32 v11, 0xbf5db3d7, v16 :: v_dual_add_f32 v16, v18, v66
	v_add_f32_e32 v66, v62, v71
	v_fmamk_f32 v18, v17, 0xbf5db3d7, v83
	v_dual_fmac_f32 v83, 0x3f5db3d7, v17 :: v_dual_fmac_f32 v62, -0.5, v63
	v_add_f32_e32 v17, v64, v69
	v_dual_add_f32 v64, v68, v70 :: v_dual_add_f32 v65, v61, v68
	s_delay_alu instid0(VALU_DEP_1) | instskip(NEXT) | instid1(VALU_DEP_2)
	v_fma_f32 v61, -0.5, v64, v61
	v_dual_sub_f32 v64, v71, v72 :: v_dual_add_f32 v63, v65, v70
	s_delay_alu instid0(VALU_DEP_1)
	v_fmamk_f32 v65, v64, 0xbf5db3d7, v61
	v_fmac_f32_e32 v61, 0x3f5db3d7, v64
	v_add_f32_e32 v64, v66, v72
	v_fmamk_f32 v66, v67, 0x3f5db3d7, v62
	v_fmac_f32_e32 v62, 0xbf5db3d7, v67
	ds_store_2addr_b64 v102, v[2:3], v[4:5] offset1:17
	ds_store_b64 v102, v[0:1] offset:272
	ds_store_2addr_b64 v103, v[6:7], v[8:9] offset1:17
	ds_store_b64 v103, v[75:76] offset:272
	;; [unrolled: 2-line block ×5, first 2 shown]
	global_wb scope:SCOPE_SE
	s_wait_dscnt 0x0
	s_barrier_signal -1
	s_barrier_wait -1
	global_inv scope:SCOPE_SE
	ds_load_2addr_b64 v[0:3], v97 offset0:102 offset1:153
	ds_load_2addr_b64 v[4:7], v56 offset0:50 offset1:101
	;; [unrolled: 1-line block ×5, first 2 shown]
	ds_load_2addr_b64 v[61:64], v97 offset1:51
	ds_load_2addr_b64 v[65:68], v57 offset0:126 offset1:177
	ds_load_b64 v[69:70], v97 offset:5712
	global_wb scope:SCOPE_SE
	s_wait_dscnt 0x0
	s_barrier_signal -1
	s_barrier_wait -1
	global_inv scope:SCOPE_SE
	v_dual_mul_f32 v71, v33, v3 :: v_dual_mul_f32 v74, v35, v4
	v_dual_mul_f32 v72, v33, v2 :: v_dual_mul_f32 v73, v35, v5
	v_mul_f32_e32 v76, v33, v17
	v_mul_f32_e32 v75, v25, v11
	s_delay_alu instid0(VALU_DEP_4)
	v_fma_f32 v74, v34, v5, -v74
	v_mul_f32_e32 v5, v27, v13
	v_fma_f32 v72, v32, v3, -v72
	v_fmac_f32_e32 v73, v34, v4
	v_fmac_f32_e32 v71, v32, v2
	v_mul_f32_e32 v2, v25, v10
	v_mul_f32_e32 v4, v33, v16
	v_fmac_f32_e32 v5, v26, v12
	v_mul_f32_e32 v3, v27, v12
	v_fmac_f32_e32 v76, v32, v16
	v_fma_f32 v33, v24, v11, -v2
	v_fma_f32 v32, v32, v17, -v4
	v_mul_f32_e32 v17, v35, v7
	v_fma_f32 v12, v26, v13, -v3
	v_mul_f32_e32 v2, v35, v6
	v_mul_f32_e32 v35, v25, v66
	;; [unrolled: 1-line block ×4, first 2 shown]
	v_fmac_f32_e32 v17, v34, v6
	v_fma_f32 v34, v34, v7, -v2
	v_dual_fmac_f32 v35, v24, v65 :: v_dual_mul_f32 v2, v27, v14
	v_mul_f32_e32 v4, v31, v8
	v_sub_f32_e32 v7, v72, v12
	v_fmac_f32_e32 v75, v24, v10
	v_fmac_f32_e32 v25, v26, v14
	v_mul_f32_e32 v27, v29, v19
	v_fma_f32 v26, v26, v15, -v2
	v_add_f32_e32 v14, v62, v72
	v_fma_f32 v24, v24, v66, -v3
	v_mul_f32_e32 v3, v29, v18
	v_dual_mul_f32 v29, v31, v9 :: v_dual_add_f32 v2, v73, v75
	v_fmac_f32_e32 v27, v28, v18
	v_sub_f32_e32 v16, v12, v33
	s_delay_alu instid0(VALU_DEP_4) | instskip(NEXT) | instid1(VALU_DEP_4)
	v_fma_f32 v28, v28, v19, -v3
	v_fmac_f32_e32 v29, v30, v8
	v_fma_f32 v30, v30, v9, -v4
	v_mul_f32_e32 v3, v21, v67
	v_add_f32_e32 v4, v61, v71
	v_fma_f32 v2, -0.5, v2, v61
	v_sub_f32_e32 v6, v71, v73
	v_add_f32_e32 v10, v71, v5
	v_fma_f32 v66, v20, v68, -v3
	s_delay_alu instid0(VALU_DEP_4) | instskip(SKIP_2) | instid1(VALU_DEP_3)
	v_dual_add_f32 v3, v4, v73 :: v_dual_fmamk_f32 v4, v7, 0xbf737871, v2
	v_dual_sub_f32 v8, v5, v75 :: v_dual_sub_f32 v9, v74, v33
	v_mul_f32_e32 v31, v21, v68
	v_add_f32_e32 v3, v3, v75
	v_mul_f32_e32 v11, v23, v69
	s_delay_alu instid0(VALU_DEP_4) | instskip(SKIP_3) | instid1(VALU_DEP_3)
	v_add_f32_e32 v13, v6, v8
	v_fma_f32 v6, -0.5, v10, v61
	v_fmac_f32_e32 v4, 0xbf167918, v9
	v_add_f32_e32 v8, v3, v5
	v_dual_add_f32 v19, v63, v76 :: v_dual_fmamk_f32 v10, v9, 0x3f737871, v6
	v_add_f32_e32 v18, v17, v35
	v_fmac_f32_e32 v2, 0x3f737871, v7
	v_fmac_f32_e32 v6, 0xbf737871, v9
	s_delay_alu instid0(VALU_DEP_4) | instskip(NEXT) | instid1(VALU_DEP_3)
	v_fmac_f32_e32 v10, 0xbf167918, v7
	v_dual_fmac_f32 v2, 0x3f167918, v9 :: v_dual_sub_f32 v3, v73, v71
	v_add_f32_e32 v9, v14, v74
	v_sub_f32_e32 v14, v72, v74
	v_fmac_f32_e32 v31, v20, v67
	v_sub_f32_e32 v20, v32, v26
	v_fma_f32 v61, v22, v70, -v11
	v_dual_sub_f32 v11, v75, v5 :: v_dual_fmac_f32 v6, 0x3f167918, v7
	v_add_f32_e32 v9, v9, v33
	v_add_f32_e32 v7, v72, v12
	s_delay_alu instid0(VALU_DEP_3) | instskip(SKIP_1) | instid1(VALU_DEP_4)
	v_dual_add_f32 v14, v14, v16 :: v_dual_add_f32 v11, v3, v11
	v_mul_f32_e32 v65, v23, v70
	v_add_f32_e32 v9, v9, v12
	v_sub_f32_e32 v16, v74, v72
	v_sub_f32_e32 v12, v33, v12
	s_delay_alu instid0(VALU_DEP_4) | instskip(SKIP_2) | instid1(VALU_DEP_4)
	v_dual_fmac_f32 v6, 0x3e9e377a, v11 :: v_dual_fmac_f32 v65, v22, v69
	v_add_f32_e32 v22, v76, v25
	v_fma_f32 v7, -0.5, v7, v62
	v_add_f32_e32 v16, v16, v12
	v_fma_f32 v12, -0.5, v18, v63
	v_add_f32_e32 v15, v74, v33
	v_sub_f32_e32 v18, v76, v17
	v_fmac_f32_e32 v4, 0x3e9e377a, v13
	v_dual_fmac_f32 v2, 0x3e9e377a, v13 :: v_dual_sub_f32 v13, v73, v75
	s_delay_alu instid0(VALU_DEP_4)
	v_fma_f32 v3, -0.5, v15, v62
	v_sub_f32_e32 v15, v71, v5
	v_fma_f32 v63, -0.5, v22, v63
	v_add_f32_e32 v22, v64, v32
	v_fmac_f32_e32 v10, 0x3e9e377a, v11
	v_fmamk_f32 v11, v13, 0xbf737871, v7
	v_fmamk_f32 v5, v15, 0x3f737871, v3
	v_fmac_f32_e32 v3, 0xbf737871, v15
	v_fmac_f32_e32 v7, 0x3f737871, v13
	v_sub_f32_e32 v21, v25, v35
	v_add_f32_e32 v23, v34, v24
	v_fmac_f32_e32 v5, 0x3f167918, v13
	v_fmac_f32_e32 v3, 0xbf167918, v13
	v_add_f32_e32 v13, v19, v17
	v_sub_f32_e32 v19, v34, v24
	v_sub_f32_e32 v33, v26, v24
	v_fmac_f32_e32 v5, 0x3e9e377a, v14
	v_fmac_f32_e32 v3, 0x3e9e377a, v14
	v_fmamk_f32 v14, v20, 0xbf737871, v12
	v_dual_fmac_f32 v12, 0x3f737871, v20 :: v_dual_add_f32 v13, v13, v35
	s_delay_alu instid0(VALU_DEP_2) | instskip(NEXT) | instid1(VALU_DEP_2)
	v_fmac_f32_e32 v14, 0xbf167918, v19
	v_fmac_f32_e32 v12, 0x3f167918, v19
	;; [unrolled: 1-line block ×4, first 2 shown]
	v_dual_add_f32 v15, v18, v21 :: v_dual_fmamk_f32 v18, v19, 0x3f737871, v63
	v_sub_f32_e32 v21, v35, v25
	s_delay_alu instid0(VALU_DEP_4) | instskip(NEXT) | instid1(VALU_DEP_4)
	v_fmac_f32_e32 v11, 0x3e9e377a, v16
	v_dual_fmac_f32 v7, 0x3e9e377a, v16 :: v_dual_add_f32 v16, v13, v25
	v_sub_f32_e32 v13, v17, v76
	v_fmac_f32_e32 v63, 0xbf737871, v19
	v_dual_fmac_f32 v18, 0xbf167918, v20 :: v_dual_add_f32 v19, v22, v34
	v_sub_f32_e32 v22, v76, v25
	s_delay_alu instid0(VALU_DEP_4) | instskip(SKIP_4) | instid1(VALU_DEP_4)
	v_add_f32_e32 v21, v13, v21
	v_fma_f32 v13, -0.5, v23, v64
	v_dual_fmac_f32 v63, 0x3f167918, v20 :: v_dual_add_f32 v20, v32, v26
	v_dual_sub_f32 v25, v32, v34 :: v_dual_fmac_f32 v14, 0x3e9e377a, v15
	v_dual_fmac_f32 v12, 0x3e9e377a, v15 :: v_dual_add_f32 v19, v19, v24
	v_fmamk_f32 v15, v22, 0x3f737871, v13
	s_delay_alu instid0(VALU_DEP_4)
	v_dual_sub_f32 v23, v17, v35 :: v_dual_fmac_f32 v64, -0.5, v20
	v_fmac_f32_e32 v13, 0xbf737871, v22
	v_fmac_f32_e32 v18, 0x3e9e377a, v21
	;; [unrolled: 1-line block ×3, first 2 shown]
	v_dual_add_f32 v21, v25, v33 :: v_dual_sub_f32 v20, v34, v32
	v_dual_sub_f32 v24, v24, v26 :: v_dual_add_f32 v25, v29, v31
	v_add_f32_e32 v17, v19, v26
	v_fmac_f32_e32 v15, 0x3f167918, v23
	v_fmamk_f32 v19, v23, 0xbf737871, v64
	v_fmac_f32_e32 v13, 0xbf167918, v23
	v_fmac_f32_e32 v64, 0x3f737871, v23
	v_add_f32_e32 v23, v0, v27
	v_add_f32_e32 v24, v20, v24
	v_fma_f32 v20, -0.5, v25, v0
	v_sub_f32_e32 v25, v28, v61
	v_fmac_f32_e32 v15, 0x3e9e377a, v21
	v_fmac_f32_e32 v13, 0x3e9e377a, v21
	v_add_f32_e32 v21, v23, v29
	v_fmac_f32_e32 v19, 0x3f167918, v22
	v_fmac_f32_e32 v64, 0xbf167918, v22
	v_dual_fmamk_f32 v22, v25, 0xbf737871, v20 :: v_dual_sub_f32 v23, v30, v66
	v_sub_f32_e32 v26, v27, v29
	v_sub_f32_e32 v32, v65, v31
	v_fmac_f32_e32 v20, 0x3f737871, v25
	v_add_f32_e32 v33, v27, v65
	v_add_f32_e32 v21, v21, v31
	v_fmac_f32_e32 v22, 0xbf167918, v23
	v_add_f32_e32 v26, v26, v32
	v_fmac_f32_e32 v20, 0x3f167918, v23
	v_fma_f32 v0, -0.5, v33, v0
	v_dual_sub_f32 v32, v29, v27 :: v_dual_sub_f32 v33, v31, v65
	v_fmac_f32_e32 v19, 0x3e9e377a, v24
	v_fmac_f32_e32 v64, 0x3e9e377a, v24
	v_dual_add_f32 v24, v21, v65 :: v_dual_add_f32 v21, v30, v66
	v_fmac_f32_e32 v22, 0x3e9e377a, v26
	v_fmac_f32_e32 v20, 0x3e9e377a, v26
	v_fmamk_f32 v26, v23, 0x3f737871, v0
	v_fmac_f32_e32 v0, 0xbf737871, v23
	v_sub_f32_e32 v34, v27, v65
	v_add_f32_e32 v27, v32, v33
	v_dual_add_f32 v32, v28, v61 :: v_dual_add_f32 v23, v1, v28
	v_fma_f32 v21, -0.5, v21, v1
	v_fmac_f32_e32 v26, 0xbf167918, v25
	v_dual_fmac_f32 v0, 0x3f167918, v25 :: v_dual_sub_f32 v29, v29, v31
	s_delay_alu instid0(VALU_DEP_4)
	v_fmac_f32_e32 v1, -0.5, v32
	v_add_f32_e32 v25, v23, v30
	v_fmamk_f32 v23, v34, 0x3f737871, v21
	v_sub_f32_e32 v31, v28, v30
	v_sub_f32_e32 v32, v61, v66
	v_fmac_f32_e32 v26, 0x3e9e377a, v27
	v_fmac_f32_e32 v0, 0x3e9e377a, v27
	;; [unrolled: 1-line block ×3, first 2 shown]
	v_dual_fmamk_f32 v27, v29, 0xbf737871, v1 :: v_dual_sub_f32 v28, v30, v28
	v_sub_f32_e32 v30, v66, v61
	v_fmac_f32_e32 v1, 0x3f737871, v29
	v_add_f32_e32 v25, v25, v66
	v_fmac_f32_e32 v23, 0x3f167918, v29
	v_add_f32_e32 v31, v31, v32
	v_fmac_f32_e32 v21, 0xbf167918, v29
	v_fmac_f32_e32 v27, 0x3f167918, v34
	v_add_f32_e32 v28, v28, v30
	v_fmac_f32_e32 v1, 0xbf167918, v34
	v_add_f32_e32 v25, v25, v61
	v_fmac_f32_e32 v23, 0x3e9e377a, v31
	ds_store_2addr_b64 v97, v[8:9], v[4:5] offset1:51
	ds_store_2addr_b64 v97, v[10:11], v[6:7] offset0:102 offset1:153
	v_add_nc_u32_e32 v4, 0xc00, v98
	v_fmac_f32_e32 v21, 0x3e9e377a, v31
	v_fmac_f32_e32 v27, 0x3e9e377a, v28
	;; [unrolled: 1-line block ×3, first 2 shown]
	v_add_nc_u32_e32 v5, 0x1000, v98
	ds_store_2addr_b64 v97, v[2:3], v[16:17] offset0:204 offset1:255
	ds_store_2addr_b64 v56, v[14:15], v[18:19] offset0:50 offset1:101
	;; [unrolled: 1-line block ×5, first 2 shown]
	ds_store_b64 v98, v[20:21] offset:5712
	global_wb scope:SCOPE_SE
	s_wait_dscnt 0x0
	s_barrier_signal -1
	s_barrier_wait -1
	global_inv scope:SCOPE_SE
	ds_load_2addr_b64 v[0:3], v97 offset0:204 offset1:255
	ds_load_2addr_b64 v[4:7], v57 offset0:126 offset1:177
	;; [unrolled: 1-line block ×3, first 2 shown]
	ds_load_2addr_b64 v[12:15], v97 offset1:51
	ds_load_2addr_b64 v[16:19], v97 offset0:102 offset1:153
	ds_load_2addr_b64 v[20:23], v60 offset0:100 offset1:151
	;; [unrolled: 1-line block ×3, first 2 shown]
	ds_load_b64 v[28:29], v97 offset:5712
	s_wait_dscnt 0x7
	v_mul_f32_e32 v30, v53, v3
	s_wait_dscnt 0x6
	v_dual_mul_f32 v32, v55, v5 :: v_dual_mul_f32 v31, v53, v2
	s_wait_dscnt 0x5
	v_mul_f32_e32 v34, v45, v11
	v_fmac_f32_e32 v30, v52, v2
	v_mul_f32_e32 v2, v55, v4
	v_fmac_f32_e32 v32, v54, v4
	v_mul_f32_e32 v4, v49, v8
	v_fma_f32 v3, v52, v3, -v31
	v_mul_f32_e32 v31, v49, v9
	v_fma_f32 v5, v54, v5, -v2
	;; [unrolled: 2-line block ×3, first 2 shown]
	s_wait_dscnt 0x2
	v_dual_mul_f32 v4, v45, v10 :: v_dual_mul_f32 v45, v47, v21
	v_fmac_f32_e32 v34, v44, v10
	v_fma_f32 v35, v50, v7, -v2
	v_mul_f32_e32 v2, v47, v20
	s_delay_alu instid0(VALU_DEP_4)
	v_fma_f32 v44, v44, v11, -v4
	s_wait_dscnt 0x1
	v_mul_f32_e32 v47, v41, v25
	v_mul_f32_e32 v4, v41, v24
	v_sub_f32_e32 v11, v30, v32
	v_fma_f32 v21, v46, v21, -v2
	s_delay_alu instid0(VALU_DEP_4) | instskip(NEXT) | instid1(VALU_DEP_4)
	v_dual_mul_f32 v2, v43, v22 :: v_dual_fmac_f32 v47, v40, v24
	v_fma_f32 v24, v40, v25, -v4
	v_mul_f32_e32 v40, v37, v27
	s_wait_dscnt 0x0
	v_dual_mul_f32 v4, v37, v26 :: v_dual_mul_f32 v37, v39, v29
	v_add_f32_e32 v10, v13, v3
	s_delay_alu instid0(VALU_DEP_3) | instskip(NEXT) | instid1(VALU_DEP_3)
	v_dual_add_f32 v25, v17, v44 :: v_dual_fmac_f32 v40, v36, v26
	v_fma_f32 v27, v36, v27, -v4
	s_delay_alu instid0(VALU_DEP_4)
	v_fmac_f32_e32 v37, v38, v28
	v_mul_f32_e32 v41, v43, v23
	v_fma_f32 v23, v42, v23, -v2
	v_mul_f32_e32 v2, v39, v28
	v_add_f32_e32 v4, v30, v32
	v_fmac_f32_e32 v45, v46, v20
	v_fmac_f32_e32 v41, v42, v22
	v_mul_f32_e32 v33, v51, v7
	v_fma_f32 v29, v38, v29, -v2
	v_sub_f32_e32 v28, v24, v23
	v_fma_f32 v2, -0.5, v4, v12
	v_add_f32_e32 v20, v16, v34
	v_fmac_f32_e32 v33, v50, v6
	v_add_f32_e32 v6, v12, v30
	v_sub_f32_e32 v12, v9, v35
	v_sub_f32_e32 v22, v44, v21
	v_sub_f32_e32 v26, v34, v45
	v_add_f32_e32 v30, v0, v40
	v_add_f32_e32 v4, v6, v32
	v_dual_sub_f32 v32, v27, v29 :: v_dual_fmac_f32 v31, v48, v8
	v_sub_f32_e32 v8, v3, v5
	v_add_f32_e32 v7, v3, v5
	v_add_f32_e32 v5, v10, v5
	s_delay_alu instid0(VALU_DEP_4) | instskip(NEXT) | instid1(VALU_DEP_4)
	v_add_f32_e32 v10, v14, v31
	v_fmamk_f32 v6, v8, 0xbf5db3d7, v2
	v_fmac_f32_e32 v2, 0x3f5db3d7, v8
	v_add_f32_e32 v8, v31, v33
	v_fma_f32 v3, -0.5, v7, v13
	v_sub_f32_e32 v13, v31, v33
	v_add_f32_e32 v31, v27, v29
	v_add_f32_e32 v27, v1, v27
	v_fma_f32 v14, -0.5, v8, v14
	v_fmamk_f32 v7, v11, 0x3f5db3d7, v3
	v_fmac_f32_e32 v3, 0xbf5db3d7, v11
	v_dual_add_f32 v11, v9, v35 :: v_dual_add_f32 v8, v10, v33
	s_delay_alu instid0(VALU_DEP_4)
	v_fmamk_f32 v10, v12, 0xbf5db3d7, v14
	v_fmac_f32_e32 v14, 0x3f5db3d7, v12
	v_add_f32_e32 v12, v34, v45
	v_add_f32_e32 v9, v15, v9
	v_fmac_f32_e32 v15, -0.5, v11
	v_fmac_f32_e32 v1, -0.5, v31
	v_add_nc_u32_e32 v31, 0x400, v105
	v_fma_f32 v12, -0.5, v12, v16
	s_delay_alu instid0(VALU_DEP_4) | instskip(SKIP_1) | instid1(VALU_DEP_3)
	v_dual_add_f32 v16, v20, v45 :: v_dual_fmamk_f32 v11, v13, 0x3f5db3d7, v15
	v_fmac_f32_e32 v15, 0xbf5db3d7, v13
	v_dual_add_f32 v13, v44, v21 :: v_dual_fmamk_f32 v20, v22, 0xbf5db3d7, v12
	v_fmac_f32_e32 v12, 0x3f5db3d7, v22
	v_dual_add_f32 v22, v47, v41 :: v_dual_add_f32 v9, v9, v35
	s_delay_alu instid0(VALU_DEP_3) | instskip(SKIP_2) | instid1(VALU_DEP_4)
	v_fma_f32 v13, -0.5, v13, v17
	v_add_f32_e32 v17, v25, v21
	v_add_f32_e32 v25, v18, v47
	v_fma_f32 v18, -0.5, v22, v18
	ds_store_2addr_b64 v105, v[4:5], v[8:9] offset1:51
	ds_store_2addr_b64 v31, v[6:7], v[10:11] offset0:127 offset1:178
	v_fmamk_f32 v21, v26, 0x3f5db3d7, v13
	v_dual_fmac_f32 v13, 0xbf5db3d7, v26 :: v_dual_add_f32 v26, v24, v23
	v_dual_add_f32 v22, v25, v41 :: v_dual_add_f32 v25, v19, v24
	v_fmamk_f32 v24, v28, 0xbf5db3d7, v18
	v_fmac_f32_e32 v18, 0x3f5db3d7, v28
	s_delay_alu instid0(VALU_DEP_4) | instskip(NEXT) | instid1(VALU_DEP_4)
	v_dual_add_f32 v28, v40, v37 :: v_dual_fmac_f32 v19, -0.5, v26
	v_dual_sub_f32 v26, v47, v41 :: v_dual_add_f32 v23, v25, v23
	v_add_nc_u32_e32 v4, 0x7f8, v106
	s_delay_alu instid0(VALU_DEP_3) | instskip(SKIP_1) | instid1(VALU_DEP_4)
	v_fma_f32 v0, -0.5, v28, v0
	v_add_f32_e32 v27, v27, v29
	v_fmamk_f32 v25, v26, 0x3f5db3d7, v19
	v_fmac_f32_e32 v19, 0xbf5db3d7, v26
	ds_store_b64 v105, v[16:17] offset:816
	v_fmamk_f32 v28, v32, 0xbf5db3d7, v0
	v_fmac_f32_e32 v0, 0x3f5db3d7, v32
	v_add_nc_u32_e32 v32, 0xc00, v105
	v_add_f32_e32 v26, v30, v37
	v_sub_f32_e32 v30, v40, v37
	ds_store_2addr_b64 v32, v[2:3], v[14:15] offset0:126 offset1:177
	v_add_nc_u32_e32 v2, 0x7f8, v59
	v_fmamk_f32 v29, v30, 0x3f5db3d7, v1
	v_fmac_f32_e32 v1, 0xbf5db3d7, v30
	v_add_nc_u32_e32 v3, 0x7f8, v58
	ds_store_2addr_b64 v4, v[20:21], v[12:13] offset1:255
	ds_store_b64 v105, v[22:23] offset:1224
	ds_store_2addr_b64 v2, v[24:25], v[18:19] offset1:255
	ds_store_b64 v105, v[26:27] offset:1632
	ds_store_2addr_b64 v3, v[28:29], v[0:1] offset1:255
	global_wb scope:SCOPE_SE
	s_wait_dscnt 0x0
	s_barrier_signal -1
	s_barrier_wait -1
	global_inv scope:SCOPE_SE
	s_and_b32 exec_lo, exec_lo, vcc_lo
	s_cbranch_execz .LBB0_15
; %bb.14:
	global_load_b64 v[0:1], v93, s[8:9]
	ds_load_b64 v[2:3], v105
	v_mad_co_u64_u32 v[6:7], null, s4, v95, 0
	s_mov_b32 s0, 0x156ac015
	s_mov_b32 s1, 0x3f556ac0
	s_mul_u64 s[2:3], s[4:5], 0x168
	s_wait_loadcnt_dscnt 0x0
	v_mul_f32_e32 v4, v3, v1
	v_mul_f32_e32 v1, v2, v1
	s_delay_alu instid0(VALU_DEP_2) | instskip(NEXT) | instid1(VALU_DEP_2)
	v_fmac_f32_e32 v4, v2, v0
	v_fma_f32 v2, v0, v3, -v1
	s_delay_alu instid0(VALU_DEP_2) | instskip(NEXT) | instid1(VALU_DEP_2)
	v_cvt_f64_f32_e32 v[0:1], v4
	v_cvt_f64_f32_e32 v[2:3], v2
	v_mad_co_u64_u32 v[4:5], null, s6, v88, 0
	s_wait_alu 0xfffe
	s_delay_alu instid0(VALU_DEP_3) | instskip(NEXT) | instid1(VALU_DEP_3)
	v_mul_f64_e32 v[0:1], s[0:1], v[0:1]
	v_mul_f64_e32 v[2:3], s[0:1], v[2:3]
	s_delay_alu instid0(VALU_DEP_2) | instskip(NEXT) | instid1(VALU_DEP_2)
	v_cvt_f32_f64_e32 v0, v[0:1]
	v_cvt_f32_f64_e32 v1, v[2:3]
	v_dual_mov_b32 v3, v7 :: v_dual_mov_b32 v2, v5
	s_delay_alu instid0(VALU_DEP_1) | instskip(SKIP_2) | instid1(VALU_DEP_3)
	v_mad_co_u64_u32 v[7:8], null, s7, v88, v[2:3]
	v_mad_co_u64_u32 v[2:3], null, s5, v95, v[3:4]
	v_lshl_add_u32 v8, v94, 3, v104
	v_mov_b32_e32 v5, v7
	s_delay_alu instid0(VALU_DEP_3) | instskip(NEXT) | instid1(VALU_DEP_2)
	v_mov_b32_e32 v7, v2
	v_lshlrev_b64_e32 v[2:3], 3, v[4:5]
	s_delay_alu instid0(VALU_DEP_2) | instskip(NEXT) | instid1(VALU_DEP_2)
	v_lshlrev_b64_e32 v[4:5], 3, v[6:7]
	v_add_co_u32 v2, vcc_lo, s12, v2
	s_delay_alu instid0(VALU_DEP_3) | instskip(NEXT) | instid1(VALU_DEP_2)
	v_add_co_ci_u32_e32 v3, vcc_lo, s13, v3, vcc_lo
	v_add_co_u32 v4, vcc_lo, v2, v4
	s_wait_alu 0xfffd
	s_delay_alu instid0(VALU_DEP_2)
	v_add_co_ci_u32_e32 v5, vcc_lo, v3, v5, vcc_lo
	global_store_b64 v[4:5], v[0:1], off
	global_load_b64 v[6:7], v93, s[8:9] offset:360
	ds_load_2addr_b64 v[0:3], v8 offset0:45 offset1:90
	v_add_co_u32 v4, vcc_lo, v4, s2
	s_wait_alu 0xfffd
	v_add_co_ci_u32_e32 v5, vcc_lo, s3, v5, vcc_lo
	s_wait_loadcnt_dscnt 0x0
	v_mul_f32_e32 v9, v1, v7
	v_mul_f32_e32 v7, v0, v7
	s_delay_alu instid0(VALU_DEP_2) | instskip(NEXT) | instid1(VALU_DEP_2)
	v_fmac_f32_e32 v9, v0, v6
	v_fma_f32 v6, v6, v1, -v7
	s_delay_alu instid0(VALU_DEP_2) | instskip(NEXT) | instid1(VALU_DEP_2)
	v_cvt_f64_f32_e32 v[0:1], v9
	v_cvt_f64_f32_e32 v[6:7], v6
	s_delay_alu instid0(VALU_DEP_2) | instskip(NEXT) | instid1(VALU_DEP_2)
	v_mul_f64_e32 v[0:1], s[0:1], v[0:1]
	v_mul_f64_e32 v[6:7], s[0:1], v[6:7]
	s_delay_alu instid0(VALU_DEP_2) | instskip(NEXT) | instid1(VALU_DEP_2)
	v_cvt_f32_f64_e32 v0, v[0:1]
	v_cvt_f32_f64_e32 v1, v[6:7]
	global_store_b64 v[4:5], v[0:1], off
	global_load_b64 v[0:1], v93, s[8:9] offset:720
	v_add_co_u32 v4, vcc_lo, v4, s2
	s_wait_alu 0xfffd
	v_add_co_ci_u32_e32 v5, vcc_lo, s3, v5, vcc_lo
	s_wait_loadcnt 0x0
	v_mul_f32_e32 v6, v3, v1
	v_mul_f32_e32 v1, v2, v1
	s_delay_alu instid0(VALU_DEP_2) | instskip(NEXT) | instid1(VALU_DEP_2)
	v_fmac_f32_e32 v6, v2, v0
	v_fma_f32 v2, v0, v3, -v1
	s_delay_alu instid0(VALU_DEP_2) | instskip(NEXT) | instid1(VALU_DEP_2)
	v_cvt_f64_f32_e32 v[0:1], v6
	v_cvt_f64_f32_e32 v[2:3], v2
	s_delay_alu instid0(VALU_DEP_2) | instskip(NEXT) | instid1(VALU_DEP_2)
	v_mul_f64_e32 v[0:1], s[0:1], v[0:1]
	v_mul_f64_e32 v[2:3], s[0:1], v[2:3]
	s_delay_alu instid0(VALU_DEP_2) | instskip(NEXT) | instid1(VALU_DEP_2)
	v_cvt_f32_f64_e32 v0, v[0:1]
	v_cvt_f32_f64_e32 v1, v[2:3]
	global_store_b64 v[4:5], v[0:1], off
	global_load_b64 v[6:7], v93, s[8:9] offset:1080
	ds_load_2addr_b64 v[0:3], v8 offset0:135 offset1:180
	v_add_co_u32 v4, vcc_lo, v4, s2
	s_wait_alu 0xfffd
	v_add_co_ci_u32_e32 v5, vcc_lo, s3, v5, vcc_lo
	s_wait_loadcnt_dscnt 0x0
	v_mul_f32_e32 v9, v1, v7
	v_mul_f32_e32 v7, v0, v7
	s_delay_alu instid0(VALU_DEP_2) | instskip(NEXT) | instid1(VALU_DEP_2)
	v_fmac_f32_e32 v9, v0, v6
	v_fma_f32 v6, v6, v1, -v7
	s_delay_alu instid0(VALU_DEP_2) | instskip(NEXT) | instid1(VALU_DEP_2)
	v_cvt_f64_f32_e32 v[0:1], v9
	v_cvt_f64_f32_e32 v[6:7], v6
	s_delay_alu instid0(VALU_DEP_2) | instskip(NEXT) | instid1(VALU_DEP_2)
	v_mul_f64_e32 v[0:1], s[0:1], v[0:1]
	v_mul_f64_e32 v[6:7], s[0:1], v[6:7]
	s_delay_alu instid0(VALU_DEP_2) | instskip(NEXT) | instid1(VALU_DEP_2)
	v_cvt_f32_f64_e32 v0, v[0:1]
	v_cvt_f32_f64_e32 v1, v[6:7]
	global_store_b64 v[4:5], v[0:1], off
	global_load_b64 v[0:1], v93, s[8:9] offset:1440
	v_add_co_u32 v4, vcc_lo, v4, s2
	s_wait_alu 0xfffd
	v_add_co_ci_u32_e32 v5, vcc_lo, s3, v5, vcc_lo
	s_wait_loadcnt 0x0
	v_mul_f32_e32 v6, v3, v1
	v_mul_f32_e32 v1, v2, v1
	s_delay_alu instid0(VALU_DEP_2) | instskip(NEXT) | instid1(VALU_DEP_2)
	v_fmac_f32_e32 v6, v2, v0
	v_fma_f32 v2, v0, v3, -v1
	s_delay_alu instid0(VALU_DEP_2) | instskip(NEXT) | instid1(VALU_DEP_2)
	v_cvt_f64_f32_e32 v[0:1], v6
	v_cvt_f64_f32_e32 v[2:3], v2
	s_delay_alu instid0(VALU_DEP_2) | instskip(NEXT) | instid1(VALU_DEP_2)
	v_mul_f64_e32 v[0:1], s[0:1], v[0:1]
	v_mul_f64_e32 v[2:3], s[0:1], v[2:3]
	s_delay_alu instid0(VALU_DEP_2) | instskip(NEXT) | instid1(VALU_DEP_2)
	v_cvt_f32_f64_e32 v0, v[0:1]
	v_cvt_f32_f64_e32 v1, v[2:3]
	global_store_b64 v[4:5], v[0:1], off
	global_load_b64 v[6:7], v93, s[8:9] offset:1800
	v_add_nc_u32_e32 v0, 0x400, v8
	v_add_co_u32 v4, vcc_lo, v4, s2
	s_wait_alu 0xfffd
	v_add_co_ci_u32_e32 v5, vcc_lo, s3, v5, vcc_lo
	ds_load_2addr_b64 v[0:3], v0 offset0:97 offset1:142
	s_wait_loadcnt_dscnt 0x0
	v_mul_f32_e32 v9, v1, v7
	v_mul_f32_e32 v7, v0, v7
	s_delay_alu instid0(VALU_DEP_2) | instskip(NEXT) | instid1(VALU_DEP_2)
	v_fmac_f32_e32 v9, v0, v6
	v_fma_f32 v6, v6, v1, -v7
	s_delay_alu instid0(VALU_DEP_2) | instskip(NEXT) | instid1(VALU_DEP_2)
	v_cvt_f64_f32_e32 v[0:1], v9
	v_cvt_f64_f32_e32 v[6:7], v6
	v_add_nc_u32_e32 v9, 0x800, v8
	s_delay_alu instid0(VALU_DEP_3) | instskip(NEXT) | instid1(VALU_DEP_3)
	v_mul_f64_e32 v[0:1], s[0:1], v[0:1]
	v_mul_f64_e32 v[6:7], s[0:1], v[6:7]
	s_delay_alu instid0(VALU_DEP_2) | instskip(NEXT) | instid1(VALU_DEP_2)
	v_cvt_f32_f64_e32 v0, v[0:1]
	v_cvt_f32_f64_e32 v1, v[6:7]
	global_store_b64 v[4:5], v[0:1], off
	global_load_b64 v[0:1], v93, s[8:9] offset:2160
	v_add_co_u32 v4, vcc_lo, v4, s2
	s_wait_alu 0xfffd
	v_add_co_ci_u32_e32 v5, vcc_lo, s3, v5, vcc_lo
	s_wait_loadcnt 0x0
	v_mul_f32_e32 v6, v3, v1
	v_mul_f32_e32 v1, v2, v1
	s_delay_alu instid0(VALU_DEP_2) | instskip(NEXT) | instid1(VALU_DEP_2)
	v_fmac_f32_e32 v6, v2, v0
	v_fma_f32 v2, v0, v3, -v1
	s_delay_alu instid0(VALU_DEP_2) | instskip(NEXT) | instid1(VALU_DEP_2)
	v_cvt_f64_f32_e32 v[0:1], v6
	v_cvt_f64_f32_e32 v[2:3], v2
	s_delay_alu instid0(VALU_DEP_2) | instskip(NEXT) | instid1(VALU_DEP_2)
	v_mul_f64_e32 v[0:1], s[0:1], v[0:1]
	v_mul_f64_e32 v[2:3], s[0:1], v[2:3]
	s_delay_alu instid0(VALU_DEP_2) | instskip(NEXT) | instid1(VALU_DEP_2)
	v_cvt_f32_f64_e32 v0, v[0:1]
	v_cvt_f32_f64_e32 v1, v[2:3]
	global_store_b64 v[4:5], v[0:1], off
	global_load_b64 v[6:7], v93, s[8:9] offset:2520
	ds_load_2addr_b64 v[0:3], v9 offset0:59 offset1:104
	v_add_co_u32 v4, vcc_lo, v4, s2
	s_wait_alu 0xfffd
	v_add_co_ci_u32_e32 v5, vcc_lo, s3, v5, vcc_lo
	s_wait_loadcnt_dscnt 0x0
	v_mul_f32_e32 v10, v1, v7
	v_mul_f32_e32 v7, v0, v7
	s_delay_alu instid0(VALU_DEP_2) | instskip(NEXT) | instid1(VALU_DEP_2)
	v_fmac_f32_e32 v10, v0, v6
	v_fma_f32 v6, v6, v1, -v7
	s_delay_alu instid0(VALU_DEP_2) | instskip(NEXT) | instid1(VALU_DEP_2)
	v_cvt_f64_f32_e32 v[0:1], v10
	v_cvt_f64_f32_e32 v[6:7], v6
	s_delay_alu instid0(VALU_DEP_2) | instskip(NEXT) | instid1(VALU_DEP_2)
	v_mul_f64_e32 v[0:1], s[0:1], v[0:1]
	v_mul_f64_e32 v[6:7], s[0:1], v[6:7]
	s_delay_alu instid0(VALU_DEP_2) | instskip(NEXT) | instid1(VALU_DEP_2)
	v_cvt_f32_f64_e32 v0, v[0:1]
	v_cvt_f32_f64_e32 v1, v[6:7]
	global_store_b64 v[4:5], v[0:1], off
	global_load_b64 v[0:1], v93, s[8:9] offset:2880
	v_add_co_u32 v4, vcc_lo, v4, s2
	s_wait_alu 0xfffd
	v_add_co_ci_u32_e32 v5, vcc_lo, s3, v5, vcc_lo
	s_wait_loadcnt 0x0
	v_mul_f32_e32 v6, v3, v1
	v_mul_f32_e32 v1, v2, v1
	s_delay_alu instid0(VALU_DEP_2) | instskip(NEXT) | instid1(VALU_DEP_2)
	v_fmac_f32_e32 v6, v2, v0
	v_fma_f32 v2, v0, v3, -v1
	s_delay_alu instid0(VALU_DEP_2) | instskip(NEXT) | instid1(VALU_DEP_2)
	v_cvt_f64_f32_e32 v[0:1], v6
	v_cvt_f64_f32_e32 v[2:3], v2
	s_delay_alu instid0(VALU_DEP_2) | instskip(NEXT) | instid1(VALU_DEP_2)
	v_mul_f64_e32 v[0:1], s[0:1], v[0:1]
	v_mul_f64_e32 v[2:3], s[0:1], v[2:3]
	s_delay_alu instid0(VALU_DEP_2) | instskip(NEXT) | instid1(VALU_DEP_2)
	v_cvt_f32_f64_e32 v0, v[0:1]
	v_cvt_f32_f64_e32 v1, v[2:3]
	global_store_b64 v[4:5], v[0:1], off
	global_load_b64 v[6:7], v93, s[8:9] offset:3240
	ds_load_2addr_b64 v[0:3], v9 offset0:149 offset1:194
	v_add_co_u32 v4, vcc_lo, v4, s2
	s_wait_alu 0xfffd
	v_add_co_ci_u32_e32 v5, vcc_lo, s3, v5, vcc_lo
	s_wait_loadcnt_dscnt 0x0
	v_mul_f32_e32 v9, v1, v7
	v_mul_f32_e32 v7, v0, v7
	s_delay_alu instid0(VALU_DEP_2) | instskip(NEXT) | instid1(VALU_DEP_2)
	v_fmac_f32_e32 v9, v0, v6
	v_fma_f32 v6, v6, v1, -v7
	s_delay_alu instid0(VALU_DEP_2) | instskip(NEXT) | instid1(VALU_DEP_2)
	v_cvt_f64_f32_e32 v[0:1], v9
	v_cvt_f64_f32_e32 v[6:7], v6
	s_delay_alu instid0(VALU_DEP_2) | instskip(NEXT) | instid1(VALU_DEP_2)
	v_mul_f64_e32 v[0:1], s[0:1], v[0:1]
	v_mul_f64_e32 v[6:7], s[0:1], v[6:7]
	s_delay_alu instid0(VALU_DEP_2) | instskip(NEXT) | instid1(VALU_DEP_2)
	v_cvt_f32_f64_e32 v0, v[0:1]
	v_cvt_f32_f64_e32 v1, v[6:7]
	global_store_b64 v[4:5], v[0:1], off
	global_load_b64 v[0:1], v93, s[8:9] offset:3600
	v_add_co_u32 v4, vcc_lo, v4, s2
	s_wait_alu 0xfffd
	v_add_co_ci_u32_e32 v5, vcc_lo, s3, v5, vcc_lo
	s_wait_loadcnt 0x0
	v_mul_f32_e32 v6, v3, v1
	v_mul_f32_e32 v1, v2, v1
	s_delay_alu instid0(VALU_DEP_2) | instskip(NEXT) | instid1(VALU_DEP_2)
	v_fmac_f32_e32 v6, v2, v0
	v_fma_f32 v2, v0, v3, -v1
	s_delay_alu instid0(VALU_DEP_2) | instskip(NEXT) | instid1(VALU_DEP_2)
	v_cvt_f64_f32_e32 v[0:1], v6
	v_cvt_f64_f32_e32 v[2:3], v2
	s_delay_alu instid0(VALU_DEP_2) | instskip(NEXT) | instid1(VALU_DEP_2)
	v_mul_f64_e32 v[0:1], s[0:1], v[0:1]
	v_mul_f64_e32 v[2:3], s[0:1], v[2:3]
	s_delay_alu instid0(VALU_DEP_2) | instskip(NEXT) | instid1(VALU_DEP_2)
	v_cvt_f32_f64_e32 v0, v[0:1]
	v_cvt_f32_f64_e32 v1, v[2:3]
	global_store_b64 v[4:5], v[0:1], off
	global_load_b64 v[6:7], v93, s[8:9] offset:3960
	v_add_nc_u32_e32 v0, 0xc00, v8
	v_add_co_u32 v4, vcc_lo, v4, s2
	s_wait_alu 0xfffd
	v_add_co_ci_u32_e32 v5, vcc_lo, s3, v5, vcc_lo
	ds_load_2addr_b64 v[0:3], v0 offset0:111 offset1:156
	s_wait_loadcnt_dscnt 0x0
	v_dual_mul_f32 v9, v1, v7 :: v_dual_add_nc_u32 v8, 0x1000, v8
	v_mul_f32_e32 v7, v0, v7
	s_delay_alu instid0(VALU_DEP_2) | instskip(NEXT) | instid1(VALU_DEP_2)
	v_fmac_f32_e32 v9, v0, v6
	v_fma_f32 v6, v6, v1, -v7
	s_delay_alu instid0(VALU_DEP_2) | instskip(NEXT) | instid1(VALU_DEP_2)
	v_cvt_f64_f32_e32 v[0:1], v9
	v_cvt_f64_f32_e32 v[6:7], v6
	s_delay_alu instid0(VALU_DEP_2) | instskip(NEXT) | instid1(VALU_DEP_2)
	v_mul_f64_e32 v[0:1], s[0:1], v[0:1]
	v_mul_f64_e32 v[6:7], s[0:1], v[6:7]
	s_delay_alu instid0(VALU_DEP_2) | instskip(NEXT) | instid1(VALU_DEP_2)
	v_cvt_f32_f64_e32 v0, v[0:1]
	v_cvt_f32_f64_e32 v1, v[6:7]
	global_store_b64 v[4:5], v[0:1], off
	global_load_b64 v[0:1], v93, s[8:9] offset:4320
	v_add_co_u32 v4, vcc_lo, v4, s2
	s_wait_alu 0xfffd
	v_add_co_ci_u32_e32 v5, vcc_lo, s3, v5, vcc_lo
	s_wait_loadcnt 0x0
	v_mul_f32_e32 v6, v3, v1
	v_mul_f32_e32 v1, v2, v1
	s_delay_alu instid0(VALU_DEP_2) | instskip(NEXT) | instid1(VALU_DEP_2)
	v_fmac_f32_e32 v6, v2, v0
	v_fma_f32 v2, v0, v3, -v1
	s_delay_alu instid0(VALU_DEP_2) | instskip(NEXT) | instid1(VALU_DEP_2)
	v_cvt_f64_f32_e32 v[0:1], v6
	v_cvt_f64_f32_e32 v[2:3], v2
	s_delay_alu instid0(VALU_DEP_2) | instskip(NEXT) | instid1(VALU_DEP_2)
	v_mul_f64_e32 v[0:1], s[0:1], v[0:1]
	v_mul_f64_e32 v[2:3], s[0:1], v[2:3]
	s_delay_alu instid0(VALU_DEP_2) | instskip(NEXT) | instid1(VALU_DEP_2)
	v_cvt_f32_f64_e32 v0, v[0:1]
	v_cvt_f32_f64_e32 v1, v[2:3]
	global_store_b64 v[4:5], v[0:1], off
	global_load_b64 v[6:7], v93, s[8:9] offset:4680
	ds_load_2addr_b64 v[0:3], v8 offset0:73 offset1:118
	v_add_co_u32 v4, vcc_lo, v4, s2
	s_wait_alu 0xfffd
	v_add_co_ci_u32_e32 v5, vcc_lo, s3, v5, vcc_lo
	s_wait_loadcnt_dscnt 0x0
	v_mul_f32_e32 v9, v1, v7
	v_mul_f32_e32 v7, v0, v7
	s_delay_alu instid0(VALU_DEP_2) | instskip(NEXT) | instid1(VALU_DEP_2)
	v_fmac_f32_e32 v9, v0, v6
	v_fma_f32 v6, v6, v1, -v7
	s_delay_alu instid0(VALU_DEP_2) | instskip(NEXT) | instid1(VALU_DEP_2)
	v_cvt_f64_f32_e32 v[0:1], v9
	v_cvt_f64_f32_e32 v[6:7], v6
	s_delay_alu instid0(VALU_DEP_2) | instskip(NEXT) | instid1(VALU_DEP_2)
	v_mul_f64_e32 v[0:1], s[0:1], v[0:1]
	v_mul_f64_e32 v[6:7], s[0:1], v[6:7]
	s_delay_alu instid0(VALU_DEP_2) | instskip(NEXT) | instid1(VALU_DEP_2)
	v_cvt_f32_f64_e32 v0, v[0:1]
	v_cvt_f32_f64_e32 v1, v[6:7]
	global_store_b64 v[4:5], v[0:1], off
	global_load_b64 v[0:1], v93, s[8:9] offset:5040
	v_add_co_u32 v4, vcc_lo, v4, s2
	s_wait_alu 0xfffd
	v_add_co_ci_u32_e32 v5, vcc_lo, s3, v5, vcc_lo
	s_wait_loadcnt 0x0
	v_mul_f32_e32 v6, v3, v1
	v_mul_f32_e32 v1, v2, v1
	s_delay_alu instid0(VALU_DEP_2) | instskip(NEXT) | instid1(VALU_DEP_2)
	v_fmac_f32_e32 v6, v2, v0
	v_fma_f32 v2, v0, v3, -v1
	s_delay_alu instid0(VALU_DEP_2) | instskip(NEXT) | instid1(VALU_DEP_2)
	v_cvt_f64_f32_e32 v[0:1], v6
	v_cvt_f64_f32_e32 v[2:3], v2
	s_delay_alu instid0(VALU_DEP_2) | instskip(NEXT) | instid1(VALU_DEP_2)
	v_mul_f64_e32 v[0:1], s[0:1], v[0:1]
	v_mul_f64_e32 v[2:3], s[0:1], v[2:3]
	s_delay_alu instid0(VALU_DEP_2) | instskip(NEXT) | instid1(VALU_DEP_2)
	v_cvt_f32_f64_e32 v0, v[0:1]
	v_cvt_f32_f64_e32 v1, v[2:3]
	global_store_b64 v[4:5], v[0:1], off
	global_load_b64 v[6:7], v93, s[8:9] offset:5400
	ds_load_2addr_b64 v[0:3], v8 offset0:163 offset1:208
	v_add_co_u32 v4, vcc_lo, v4, s2
	s_wait_alu 0xfffd
	v_add_co_ci_u32_e32 v5, vcc_lo, s3, v5, vcc_lo
	s_wait_loadcnt_dscnt 0x0
	v_mul_f32_e32 v8, v1, v7
	v_mul_f32_e32 v7, v0, v7
	s_delay_alu instid0(VALU_DEP_2) | instskip(NEXT) | instid1(VALU_DEP_2)
	v_fmac_f32_e32 v8, v0, v6
	v_fma_f32 v6, v6, v1, -v7
	s_delay_alu instid0(VALU_DEP_2) | instskip(NEXT) | instid1(VALU_DEP_2)
	v_cvt_f64_f32_e32 v[0:1], v8
	v_cvt_f64_f32_e32 v[6:7], v6
	s_delay_alu instid0(VALU_DEP_2) | instskip(NEXT) | instid1(VALU_DEP_2)
	v_mul_f64_e32 v[0:1], s[0:1], v[0:1]
	v_mul_f64_e32 v[6:7], s[0:1], v[6:7]
	s_delay_alu instid0(VALU_DEP_2) | instskip(NEXT) | instid1(VALU_DEP_2)
	v_cvt_f32_f64_e32 v0, v[0:1]
	v_cvt_f32_f64_e32 v1, v[6:7]
	global_store_b64 v[4:5], v[0:1], off
	global_load_b64 v[0:1], v93, s[8:9] offset:5760
	s_wait_loadcnt 0x0
	v_mul_f32_e32 v6, v3, v1
	v_mul_f32_e32 v1, v2, v1
	s_delay_alu instid0(VALU_DEP_2) | instskip(NEXT) | instid1(VALU_DEP_2)
	v_fmac_f32_e32 v6, v2, v0
	v_fma_f32 v2, v0, v3, -v1
	s_delay_alu instid0(VALU_DEP_2) | instskip(NEXT) | instid1(VALU_DEP_2)
	v_cvt_f64_f32_e32 v[0:1], v6
	v_cvt_f64_f32_e32 v[2:3], v2
	s_delay_alu instid0(VALU_DEP_2) | instskip(NEXT) | instid1(VALU_DEP_2)
	v_mul_f64_e32 v[0:1], s[0:1], v[0:1]
	v_mul_f64_e32 v[2:3], s[0:1], v[2:3]
	s_delay_alu instid0(VALU_DEP_2) | instskip(NEXT) | instid1(VALU_DEP_2)
	v_cvt_f32_f64_e32 v0, v[0:1]
	v_cvt_f32_f64_e32 v1, v[2:3]
	v_add_co_u32 v2, vcc_lo, v4, s2
	s_wait_alu 0xfffd
	v_add_co_ci_u32_e32 v3, vcc_lo, s3, v5, vcc_lo
	global_store_b64 v[2:3], v[0:1], off
.LBB0_15:
	s_nop 0
	s_sendmsg sendmsg(MSG_DEALLOC_VGPRS)
	s_endpgm
	.section	.rodata,"a",@progbits
	.p2align	6, 0x0
	.amdhsa_kernel bluestein_single_back_len765_dim1_sp_op_CI_CI
		.amdhsa_group_segment_fixed_size 30600
		.amdhsa_private_segment_fixed_size 0
		.amdhsa_kernarg_size 104
		.amdhsa_user_sgpr_count 2
		.amdhsa_user_sgpr_dispatch_ptr 0
		.amdhsa_user_sgpr_queue_ptr 0
		.amdhsa_user_sgpr_kernarg_segment_ptr 1
		.amdhsa_user_sgpr_dispatch_id 0
		.amdhsa_user_sgpr_private_segment_size 0
		.amdhsa_wavefront_size32 1
		.amdhsa_uses_dynamic_stack 0
		.amdhsa_enable_private_segment 0
		.amdhsa_system_sgpr_workgroup_id_x 1
		.amdhsa_system_sgpr_workgroup_id_y 0
		.amdhsa_system_sgpr_workgroup_id_z 0
		.amdhsa_system_sgpr_workgroup_info 0
		.amdhsa_system_vgpr_workitem_id 0
		.amdhsa_next_free_vgpr 226
		.amdhsa_next_free_sgpr 14
		.amdhsa_reserve_vcc 1
		.amdhsa_float_round_mode_32 0
		.amdhsa_float_round_mode_16_64 0
		.amdhsa_float_denorm_mode_32 3
		.amdhsa_float_denorm_mode_16_64 3
		.amdhsa_fp16_overflow 0
		.amdhsa_workgroup_processor_mode 1
		.amdhsa_memory_ordered 1
		.amdhsa_forward_progress 0
		.amdhsa_round_robin_scheduling 0
		.amdhsa_exception_fp_ieee_invalid_op 0
		.amdhsa_exception_fp_denorm_src 0
		.amdhsa_exception_fp_ieee_div_zero 0
		.amdhsa_exception_fp_ieee_overflow 0
		.amdhsa_exception_fp_ieee_underflow 0
		.amdhsa_exception_fp_ieee_inexact 0
		.amdhsa_exception_int_div_zero 0
	.end_amdhsa_kernel
	.text
.Lfunc_end0:
	.size	bluestein_single_back_len765_dim1_sp_op_CI_CI, .Lfunc_end0-bluestein_single_back_len765_dim1_sp_op_CI_CI
                                        ; -- End function
	.section	.AMDGPU.csdata,"",@progbits
; Kernel info:
; codeLenInByte = 22588
; NumSgprs: 16
; NumVgprs: 226
; ScratchSize: 0
; MemoryBound: 0
; FloatMode: 240
; IeeeMode: 1
; LDSByteSize: 30600 bytes/workgroup (compile time only)
; SGPRBlocks: 1
; VGPRBlocks: 28
; NumSGPRsForWavesPerEU: 16
; NumVGPRsForWavesPerEU: 226
; Occupancy: 6
; WaveLimiterHint : 1
; COMPUTE_PGM_RSRC2:SCRATCH_EN: 0
; COMPUTE_PGM_RSRC2:USER_SGPR: 2
; COMPUTE_PGM_RSRC2:TRAP_HANDLER: 0
; COMPUTE_PGM_RSRC2:TGID_X_EN: 1
; COMPUTE_PGM_RSRC2:TGID_Y_EN: 0
; COMPUTE_PGM_RSRC2:TGID_Z_EN: 0
; COMPUTE_PGM_RSRC2:TIDIG_COMP_CNT: 0
	.text
	.p2alignl 7, 3214868480
	.fill 96, 4, 3214868480
	.type	__hip_cuid_7ff79ca8186a9d19,@object ; @__hip_cuid_7ff79ca8186a9d19
	.section	.bss,"aw",@nobits
	.globl	__hip_cuid_7ff79ca8186a9d19
__hip_cuid_7ff79ca8186a9d19:
	.byte	0                               ; 0x0
	.size	__hip_cuid_7ff79ca8186a9d19, 1

	.ident	"AMD clang version 19.0.0git (https://github.com/RadeonOpenCompute/llvm-project roc-6.4.0 25133 c7fe45cf4b819c5991fe208aaa96edf142730f1d)"
	.section	".note.GNU-stack","",@progbits
	.addrsig
	.addrsig_sym __hip_cuid_7ff79ca8186a9d19
	.amdgpu_metadata
---
amdhsa.kernels:
  - .args:
      - .actual_access:  read_only
        .address_space:  global
        .offset:         0
        .size:           8
        .value_kind:     global_buffer
      - .actual_access:  read_only
        .address_space:  global
        .offset:         8
        .size:           8
        .value_kind:     global_buffer
      - .actual_access:  read_only
        .address_space:  global
        .offset:         16
        .size:           8
        .value_kind:     global_buffer
      - .actual_access:  read_only
        .address_space:  global
        .offset:         24
        .size:           8
        .value_kind:     global_buffer
      - .actual_access:  read_only
        .address_space:  global
        .offset:         32
        .size:           8
        .value_kind:     global_buffer
      - .offset:         40
        .size:           8
        .value_kind:     by_value
      - .address_space:  global
        .offset:         48
        .size:           8
        .value_kind:     global_buffer
      - .address_space:  global
        .offset:         56
        .size:           8
        .value_kind:     global_buffer
      - .address_space:  global
        .offset:         64
        .size:           8
        .value_kind:     global_buffer
      - .address_space:  global
        .offset:         72
        .size:           8
        .value_kind:     global_buffer
      - .offset:         80
        .size:           4
        .value_kind:     by_value
      - .address_space:  global
        .offset:         88
        .size:           8
        .value_kind:     global_buffer
      - .address_space:  global
        .offset:         96
        .size:           8
        .value_kind:     global_buffer
    .group_segment_fixed_size: 30600
    .kernarg_segment_align: 8
    .kernarg_segment_size: 104
    .language:       OpenCL C
    .language_version:
      - 2
      - 0
    .max_flat_workgroup_size: 255
    .name:           bluestein_single_back_len765_dim1_sp_op_CI_CI
    .private_segment_fixed_size: 0
    .sgpr_count:     16
    .sgpr_spill_count: 0
    .symbol:         bluestein_single_back_len765_dim1_sp_op_CI_CI.kd
    .uniform_work_group_size: 1
    .uses_dynamic_stack: false
    .vgpr_count:     226
    .vgpr_spill_count: 0
    .wavefront_size: 32
    .workgroup_processor_mode: 1
amdhsa.target:   amdgcn-amd-amdhsa--gfx1201
amdhsa.version:
  - 1
  - 2
...

	.end_amdgpu_metadata
